;; amdgpu-corpus repo=ROCm/rocFFT kind=compiled arch=gfx1201 opt=O3
	.text
	.amdgcn_target "amdgcn-amd-amdhsa--gfx1201"
	.amdhsa_code_object_version 6
	.protected	fft_rtc_back_len1815_factors_11_3_5_11_wgs_165_tpt_165_sp_op_CI_CI_sbrr_dirReg ; -- Begin function fft_rtc_back_len1815_factors_11_3_5_11_wgs_165_tpt_165_sp_op_CI_CI_sbrr_dirReg
	.globl	fft_rtc_back_len1815_factors_11_3_5_11_wgs_165_tpt_165_sp_op_CI_CI_sbrr_dirReg
	.p2align	8
	.type	fft_rtc_back_len1815_factors_11_3_5_11_wgs_165_tpt_165_sp_op_CI_CI_sbrr_dirReg,@function
fft_rtc_back_len1815_factors_11_3_5_11_wgs_165_tpt_165_sp_op_CI_CI_sbrr_dirReg: ; @fft_rtc_back_len1815_factors_11_3_5_11_wgs_165_tpt_165_sp_op_CI_CI_sbrr_dirReg
; %bb.0:
	s_clause 0x2
	s_load_b128 s[12:15], s[0:1], 0x18
	s_load_b128 s[8:11], s[0:1], 0x0
	;; [unrolled: 1-line block ×3, first 2 shown]
	v_mul_u32_u24_e32 v1, 0x18e, v0
	v_mov_b32_e32 v4, 0
	v_mov_b32_e32 v5, 0
	s_wait_kmcnt 0x0
	s_load_b64 s[18:19], s[12:13], 0x0
	s_load_b64 s[16:17], s[14:15], 0x0
	v_lshrrev_b32_e32 v2, 16, v1
	v_mov_b32_e32 v1, 0
	v_cmp_lt_u64_e64 s2, s[10:11], 2
	s_delay_alu instid0(VALU_DEP_2) | instskip(NEXT) | instid1(VALU_DEP_2)
	v_dual_mov_b32 v7, v1 :: v_dual_add_nc_u32 v6, ttmp9, v2
	s_and_b32 vcc_lo, exec_lo, s2
	s_cbranch_vccnz .LBB0_8
; %bb.1:
	s_load_b64 s[2:3], s[0:1], 0x10
	v_mov_b32_e32 v4, 0
	v_mov_b32_e32 v5, 0
	s_add_nc_u64 s[20:21], s[14:15], 8
	s_add_nc_u64 s[22:23], s[12:13], 8
	s_mov_b64 s[24:25], 1
	s_delay_alu instid0(VALU_DEP_1)
	v_dual_mov_b32 v21, v5 :: v_dual_mov_b32 v20, v4
	s_wait_kmcnt 0x0
	s_add_nc_u64 s[26:27], s[2:3], 8
	s_mov_b32 s3, 0
.LBB0_2:                                ; =>This Inner Loop Header: Depth=1
	s_load_b64 s[28:29], s[26:27], 0x0
                                        ; implicit-def: $vgpr22_vgpr23
	s_mov_b32 s2, exec_lo
	s_wait_kmcnt 0x0
	v_or_b32_e32 v2, s29, v7
	s_delay_alu instid0(VALU_DEP_1)
	v_cmpx_ne_u64_e32 0, v[1:2]
	s_wait_alu 0xfffe
	s_xor_b32 s30, exec_lo, s2
	s_cbranch_execz .LBB0_4
; %bb.3:                                ;   in Loop: Header=BB0_2 Depth=1
	s_cvt_f32_u32 s2, s28
	s_cvt_f32_u32 s31, s29
	s_sub_nc_u64 s[36:37], 0, s[28:29]
	s_wait_alu 0xfffe
	s_delay_alu instid0(SALU_CYCLE_1) | instskip(SKIP_1) | instid1(SALU_CYCLE_2)
	s_fmamk_f32 s2, s31, 0x4f800000, s2
	s_wait_alu 0xfffe
	v_s_rcp_f32 s2, s2
	s_delay_alu instid0(TRANS32_DEP_1) | instskip(SKIP_1) | instid1(SALU_CYCLE_2)
	s_mul_f32 s2, s2, 0x5f7ffffc
	s_wait_alu 0xfffe
	s_mul_f32 s31, s2, 0x2f800000
	s_wait_alu 0xfffe
	s_delay_alu instid0(SALU_CYCLE_2) | instskip(SKIP_1) | instid1(SALU_CYCLE_2)
	s_trunc_f32 s31, s31
	s_wait_alu 0xfffe
	s_fmamk_f32 s2, s31, 0xcf800000, s2
	s_cvt_u32_f32 s35, s31
	s_wait_alu 0xfffe
	s_delay_alu instid0(SALU_CYCLE_1) | instskip(SKIP_1) | instid1(SALU_CYCLE_2)
	s_cvt_u32_f32 s34, s2
	s_wait_alu 0xfffe
	s_mul_u64 s[38:39], s[36:37], s[34:35]
	s_wait_alu 0xfffe
	s_mul_hi_u32 s41, s34, s39
	s_mul_i32 s40, s34, s39
	s_mul_hi_u32 s2, s34, s38
	s_mul_i32 s33, s35, s38
	s_wait_alu 0xfffe
	s_add_nc_u64 s[40:41], s[2:3], s[40:41]
	s_mul_hi_u32 s31, s35, s38
	s_mul_hi_u32 s42, s35, s39
	s_add_co_u32 s2, s40, s33
	s_wait_alu 0xfffe
	s_add_co_ci_u32 s2, s41, s31
	s_mul_i32 s38, s35, s39
	s_add_co_ci_u32 s39, s42, 0
	s_wait_alu 0xfffe
	s_add_nc_u64 s[38:39], s[2:3], s[38:39]
	s_wait_alu 0xfffe
	v_add_co_u32 v2, s2, s34, s38
	s_delay_alu instid0(VALU_DEP_1) | instskip(SKIP_1) | instid1(VALU_DEP_1)
	s_cmp_lg_u32 s2, 0
	s_add_co_ci_u32 s35, s35, s39
	v_readfirstlane_b32 s34, v2
	s_wait_alu 0xfffe
	s_delay_alu instid0(VALU_DEP_1)
	s_mul_u64 s[36:37], s[36:37], s[34:35]
	s_wait_alu 0xfffe
	s_mul_hi_u32 s39, s34, s37
	s_mul_i32 s38, s34, s37
	s_mul_hi_u32 s2, s34, s36
	s_mul_i32 s33, s35, s36
	s_wait_alu 0xfffe
	s_add_nc_u64 s[38:39], s[2:3], s[38:39]
	s_mul_hi_u32 s31, s35, s36
	s_mul_hi_u32 s34, s35, s37
	s_wait_alu 0xfffe
	s_add_co_u32 s2, s38, s33
	s_add_co_ci_u32 s2, s39, s31
	s_mul_i32 s36, s35, s37
	s_add_co_ci_u32 s37, s34, 0
	s_wait_alu 0xfffe
	s_add_nc_u64 s[36:37], s[2:3], s[36:37]
	s_wait_alu 0xfffe
	v_add_co_u32 v8, s2, v2, s36
	s_delay_alu instid0(VALU_DEP_1) | instskip(SKIP_1) | instid1(VALU_DEP_1)
	s_cmp_lg_u32 s2, 0
	s_add_co_ci_u32 s2, s35, s37
	v_mul_hi_u32 v12, v6, v8
	s_wait_alu 0xfffe
	v_mad_co_u64_u32 v[2:3], null, v6, s2, 0
	v_mad_co_u64_u32 v[8:9], null, v7, v8, 0
	;; [unrolled: 1-line block ×3, first 2 shown]
	s_delay_alu instid0(VALU_DEP_3) | instskip(SKIP_1) | instid1(VALU_DEP_4)
	v_add_co_u32 v2, vcc_lo, v12, v2
	s_wait_alu 0xfffd
	v_add_co_ci_u32_e32 v3, vcc_lo, 0, v3, vcc_lo
	s_delay_alu instid0(VALU_DEP_2) | instskip(SKIP_1) | instid1(VALU_DEP_2)
	v_add_co_u32 v2, vcc_lo, v2, v8
	s_wait_alu 0xfffd
	v_add_co_ci_u32_e32 v2, vcc_lo, v3, v9, vcc_lo
	s_wait_alu 0xfffd
	v_add_co_ci_u32_e32 v3, vcc_lo, 0, v11, vcc_lo
	s_delay_alu instid0(VALU_DEP_2) | instskip(SKIP_1) | instid1(VALU_DEP_2)
	v_add_co_u32 v8, vcc_lo, v2, v10
	s_wait_alu 0xfffd
	v_add_co_ci_u32_e32 v9, vcc_lo, 0, v3, vcc_lo
	s_delay_alu instid0(VALU_DEP_2) | instskip(SKIP_1) | instid1(VALU_DEP_3)
	v_mul_lo_u32 v10, s29, v8
	v_mad_co_u64_u32 v[2:3], null, s28, v8, 0
	v_mul_lo_u32 v11, s28, v9
	s_delay_alu instid0(VALU_DEP_2) | instskip(NEXT) | instid1(VALU_DEP_2)
	v_sub_co_u32 v2, vcc_lo, v6, v2
	v_add3_u32 v3, v3, v11, v10
	s_delay_alu instid0(VALU_DEP_1) | instskip(SKIP_1) | instid1(VALU_DEP_1)
	v_sub_nc_u32_e32 v10, v7, v3
	s_wait_alu 0xfffd
	v_subrev_co_ci_u32_e64 v10, s2, s29, v10, vcc_lo
	v_add_co_u32 v11, s2, v8, 2
	s_wait_alu 0xf1ff
	v_add_co_ci_u32_e64 v12, s2, 0, v9, s2
	v_sub_co_u32 v13, s2, v2, s28
	v_sub_co_ci_u32_e32 v3, vcc_lo, v7, v3, vcc_lo
	s_wait_alu 0xf1ff
	v_subrev_co_ci_u32_e64 v10, s2, 0, v10, s2
	s_delay_alu instid0(VALU_DEP_3) | instskip(NEXT) | instid1(VALU_DEP_3)
	v_cmp_le_u32_e32 vcc_lo, s28, v13
	v_cmp_eq_u32_e64 s2, s29, v3
	s_wait_alu 0xfffd
	v_cndmask_b32_e64 v13, 0, -1, vcc_lo
	v_cmp_le_u32_e32 vcc_lo, s29, v10
	s_wait_alu 0xfffd
	v_cndmask_b32_e64 v14, 0, -1, vcc_lo
	v_cmp_le_u32_e32 vcc_lo, s28, v2
	;; [unrolled: 3-line block ×3, first 2 shown]
	s_wait_alu 0xfffd
	v_cndmask_b32_e64 v15, 0, -1, vcc_lo
	v_cmp_eq_u32_e32 vcc_lo, s29, v10
	s_wait_alu 0xf1ff
	s_delay_alu instid0(VALU_DEP_2)
	v_cndmask_b32_e64 v2, v15, v2, s2
	s_wait_alu 0xfffd
	v_cndmask_b32_e32 v10, v14, v13, vcc_lo
	v_add_co_u32 v13, vcc_lo, v8, 1
	s_wait_alu 0xfffd
	v_add_co_ci_u32_e32 v14, vcc_lo, 0, v9, vcc_lo
	s_delay_alu instid0(VALU_DEP_3) | instskip(SKIP_1) | instid1(VALU_DEP_2)
	v_cmp_ne_u32_e32 vcc_lo, 0, v10
	s_wait_alu 0xfffd
	v_dual_cndmask_b32 v3, v14, v12 :: v_dual_cndmask_b32 v10, v13, v11
	v_cmp_ne_u32_e32 vcc_lo, 0, v2
	s_wait_alu 0xfffd
	s_delay_alu instid0(VALU_DEP_2)
	v_dual_cndmask_b32 v23, v9, v3 :: v_dual_cndmask_b32 v22, v8, v10
.LBB0_4:                                ;   in Loop: Header=BB0_2 Depth=1
	s_wait_alu 0xfffe
	s_and_not1_saveexec_b32 s2, s30
	s_cbranch_execz .LBB0_6
; %bb.5:                                ;   in Loop: Header=BB0_2 Depth=1
	v_cvt_f32_u32_e32 v2, s28
	s_sub_co_i32 s30, 0, s28
	v_mov_b32_e32 v23, v1
	s_delay_alu instid0(VALU_DEP_2) | instskip(NEXT) | instid1(TRANS32_DEP_1)
	v_rcp_iflag_f32_e32 v2, v2
	v_mul_f32_e32 v2, 0x4f7ffffe, v2
	s_delay_alu instid0(VALU_DEP_1) | instskip(SKIP_1) | instid1(VALU_DEP_1)
	v_cvt_u32_f32_e32 v2, v2
	s_wait_alu 0xfffe
	v_mul_lo_u32 v3, s30, v2
	s_delay_alu instid0(VALU_DEP_1) | instskip(NEXT) | instid1(VALU_DEP_1)
	v_mul_hi_u32 v3, v2, v3
	v_add_nc_u32_e32 v2, v2, v3
	s_delay_alu instid0(VALU_DEP_1) | instskip(NEXT) | instid1(VALU_DEP_1)
	v_mul_hi_u32 v2, v6, v2
	v_mul_lo_u32 v3, v2, s28
	v_add_nc_u32_e32 v8, 1, v2
	s_delay_alu instid0(VALU_DEP_2) | instskip(NEXT) | instid1(VALU_DEP_1)
	v_sub_nc_u32_e32 v3, v6, v3
	v_subrev_nc_u32_e32 v9, s28, v3
	v_cmp_le_u32_e32 vcc_lo, s28, v3
	s_wait_alu 0xfffd
	s_delay_alu instid0(VALU_DEP_2) | instskip(NEXT) | instid1(VALU_DEP_1)
	v_dual_cndmask_b32 v3, v3, v9 :: v_dual_cndmask_b32 v2, v2, v8
	v_cmp_le_u32_e32 vcc_lo, s28, v3
	s_delay_alu instid0(VALU_DEP_2) | instskip(SKIP_1) | instid1(VALU_DEP_1)
	v_add_nc_u32_e32 v8, 1, v2
	s_wait_alu 0xfffd
	v_cndmask_b32_e32 v22, v2, v8, vcc_lo
.LBB0_6:                                ;   in Loop: Header=BB0_2 Depth=1
	s_wait_alu 0xfffe
	s_or_b32 exec_lo, exec_lo, s2
	v_mul_lo_u32 v8, v23, s28
	s_delay_alu instid0(VALU_DEP_2)
	v_mul_lo_u32 v9, v22, s29
	s_load_b64 s[30:31], s[22:23], 0x0
	v_mad_co_u64_u32 v[2:3], null, v22, s28, 0
	s_load_b64 s[28:29], s[20:21], 0x0
	s_add_nc_u64 s[24:25], s[24:25], 1
	s_add_nc_u64 s[20:21], s[20:21], 8
	s_wait_alu 0xfffe
	v_cmp_ge_u64_e64 s2, s[24:25], s[10:11]
	s_add_nc_u64 s[22:23], s[22:23], 8
	s_add_nc_u64 s[26:27], s[26:27], 8
	v_add3_u32 v3, v3, v9, v8
	v_sub_co_u32 v2, vcc_lo, v6, v2
	s_wait_alu 0xfffd
	s_delay_alu instid0(VALU_DEP_2) | instskip(SKIP_2) | instid1(VALU_DEP_1)
	v_sub_co_ci_u32_e32 v3, vcc_lo, v7, v3, vcc_lo
	s_and_b32 vcc_lo, exec_lo, s2
	s_wait_kmcnt 0x0
	v_mul_lo_u32 v6, s30, v3
	v_mul_lo_u32 v7, s31, v2
	v_mad_co_u64_u32 v[4:5], null, s30, v2, v[4:5]
	v_mul_lo_u32 v3, s28, v3
	v_mul_lo_u32 v8, s29, v2
	v_mad_co_u64_u32 v[20:21], null, s28, v2, v[20:21]
	s_delay_alu instid0(VALU_DEP_4) | instskip(NEXT) | instid1(VALU_DEP_2)
	v_add3_u32 v5, v7, v5, v6
	v_add3_u32 v21, v8, v21, v3
	s_wait_alu 0xfffe
	s_cbranch_vccnz .LBB0_9
; %bb.7:                                ;   in Loop: Header=BB0_2 Depth=1
	v_dual_mov_b32 v6, v22 :: v_dual_mov_b32 v7, v23
	s_branch .LBB0_2
.LBB0_8:
	v_dual_mov_b32 v21, v5 :: v_dual_mov_b32 v20, v4
	s_delay_alu instid0(VALU_DEP_2)
	v_dual_mov_b32 v23, v7 :: v_dual_mov_b32 v22, v6
.LBB0_9:
	s_load_b64 s[0:1], s[0:1], 0x28
	v_mul_hi_u32 v2, 0x18d3019, v0
	s_lshl_b64 s[10:11], s[10:11], 3
                                        ; implicit-def: $sgpr2_sgpr3
                                        ; implicit-def: $sgpr20
                                        ; implicit-def: $vgpr34
                                        ; implicit-def: $vgpr41
                                        ; implicit-def: $vgpr35
                                        ; implicit-def: $vgpr28
	s_wait_kmcnt 0x0
	v_cmp_gt_u64_e32 vcc_lo, s[0:1], v[22:23]
	v_cmp_le_u64_e64 s0, s[0:1], v[22:23]
	s_delay_alu instid0(VALU_DEP_1)
	s_and_saveexec_b32 s1, s0
	s_wait_alu 0xfffe
	s_xor_b32 s0, exec_lo, s1
; %bb.10:
	v_mul_u32_u24_e32 v1, 0xa5, v2
	s_mov_b32 s20, 0
	s_mov_b64 s[2:3], 0
                                        ; implicit-def: $vgpr2
                                        ; implicit-def: $vgpr4_vgpr5
	s_delay_alu instid0(VALU_DEP_1) | instskip(NEXT) | instid1(VALU_DEP_1)
	v_sub_nc_u32_e32 v34, v0, v1
                                        ; implicit-def: $vgpr0
	v_add_nc_u32_e32 v41, 0xa5, v34
	v_add_nc_u32_e32 v35, 0x14a, v34
	;; [unrolled: 1-line block ×3, first 2 shown]
; %bb.11:
	s_wait_alu 0xfffe
	s_or_saveexec_b32 s1, s0
	v_mov_b32_e32 v12, s3
	v_dual_mov_b32 v36, s20 :: v_dual_mov_b32 v11, s2
	s_add_nc_u64 s[2:3], s[14:15], s[10:11]
                                        ; implicit-def: $vgpr25
                                        ; implicit-def: $vgpr14
                                        ; implicit-def: $vgpr6
                                        ; implicit-def: $vgpr8
                                        ; implicit-def: $vgpr1
                                        ; implicit-def: $vgpr27
                                        ; implicit-def: $vgpr18
                                        ; implicit-def: $vgpr16
                                        ; implicit-def: $vgpr10
                                        ; implicit-def: $vgpr3
	s_wait_alu 0xfffe
	s_xor_b32 exec_lo, exec_lo, s1
	s_cbranch_execz .LBB0_13
; %bb.12:
	s_add_nc_u64 s[10:11], s[12:13], s[10:11]
	v_mul_u32_u24_e32 v1, 0xa5, v2
	s_load_b64 s[10:11], s[10:11], 0x0
	v_lshlrev_b64_e32 v[4:5], 3, v[4:5]
	s_delay_alu instid0(VALU_DEP_2) | instskip(NEXT) | instid1(VALU_DEP_1)
	v_sub_nc_u32_e32 v34, v0, v1
	v_add_nc_u32_e32 v41, 0xa5, v34
	v_mad_co_u64_u32 v[0:1], null, s18, v34, 0
	v_add_nc_u32_e32 v35, 0x14a, v34
	v_add_nc_u32_e32 v19, 0x294, v34
	s_delay_alu instid0(VALU_DEP_4) | instskip(SKIP_1) | instid1(VALU_DEP_4)
	v_mad_co_u64_u32 v[2:3], null, s18, v41, 0
	v_add_nc_u32_e32 v28, 0x1ef, v34
	v_mad_co_u64_u32 v[6:7], null, s18, v35, 0
	v_add_nc_u32_e32 v33, 0x672, v34
	s_wait_kmcnt 0x0
	v_mul_lo_u32 v14, s11, v22
	v_mul_lo_u32 v15, s10, v23
	v_mad_co_u64_u32 v[10:11], null, s10, v22, 0
	v_mad_co_u64_u32 v[12:13], null, s19, v34, v[1:2]
	v_mov_b32_e32 v1, v3
	v_mad_co_u64_u32 v[8:9], null, s18, v28, 0
	v_mov_b32_e32 v3, v7
	v_add3_u32 v11, v11, v15, v14
	s_delay_alu instid0(VALU_DEP_4) | instskip(SKIP_2) | instid1(VALU_DEP_4)
	v_mad_co_u64_u32 v[13:14], null, s19, v41, v[1:2]
	v_mov_b32_e32 v1, v12
	v_mov_b32_e32 v7, v9
	v_lshlrev_b64_e32 v[9:10], 3, v[10:11]
	s_delay_alu instid0(VALU_DEP_3) | instskip(NEXT) | instid1(VALU_DEP_3)
	v_lshlrev_b64_e32 v[0:1], 3, v[0:1]
	v_mad_co_u64_u32 v[11:12], null, s19, v28, v[7:8]
	v_add_nc_u32_e32 v12, 0x339, v34
	v_mad_co_u64_u32 v[14:15], null, s19, v35, v[3:4]
	v_add_co_u32 v9, s0, s4, v9
	v_mad_co_u64_u32 v[15:16], null, s18, v19, 0
	s_wait_alu 0xf1ff
	v_add_co_ci_u32_e64 v10, s0, s5, v10, s0
	s_delay_alu instid0(VALU_DEP_4)
	v_mov_b32_e32 v7, v14
	v_add_co_u32 v36, s0, v9, v4
	v_mov_b32_e32 v9, v11
	s_wait_alu 0xf1ff
	v_add_co_ci_u32_e64 v37, s0, v10, v5, s0
	v_lshlrev_b64_e32 v[4:5], 3, v[6:7]
	v_mov_b32_e32 v6, v16
	v_lshlrev_b64_e32 v[7:8], 3, v[8:9]
	v_add_co_u32 v0, s0, v36, v0
	v_mad_co_u64_u32 v[17:18], null, s18, v12, 0
	s_wait_alu 0xf1ff
	v_add_co_ci_u32_e64 v1, s0, v37, v1, s0
	s_delay_alu instid0(VALU_DEP_4) | instskip(NEXT) | instid1(VALU_DEP_3)
	v_mad_co_u64_u32 v[9:10], null, s19, v19, v[6:7]
	v_dual_mov_b32 v6, v18 :: v_dual_add_nc_u32 v19, 0x3de, v34
	s_delay_alu instid0(VALU_DEP_1) | instskip(NEXT) | instid1(VALU_DEP_3)
	v_mad_co_u64_u32 v[26:27], null, s18, v19, 0
	v_dual_mov_b32 v3, v13 :: v_dual_mov_b32 v16, v9
	s_delay_alu instid0(VALU_DEP_1) | instskip(NEXT) | instid1(VALU_DEP_1)
	v_lshlrev_b64_e32 v[2:3], 3, v[2:3]
	v_add_co_u32 v2, s0, v36, v2
	s_wait_alu 0xf1ff
	s_delay_alu instid0(VALU_DEP_2)
	v_add_co_ci_u32_e64 v3, s0, v37, v3, s0
	v_add_co_u32 v4, s0, v36, v4
	s_wait_alu 0xf1ff
	v_add_co_ci_u32_e64 v5, s0, v37, v5, s0
	v_add_co_u32 v7, s0, v36, v7
	s_wait_alu 0xf1ff
	v_add_co_ci_u32_e64 v8, s0, v37, v8, s0
	s_delay_alu instid0(VALU_DEP_2)
	v_mad_co_u64_u32 v[9:10], null, s19, v12, v[6:7]
	v_add_nc_u32_e32 v10, 0x483, v34
	s_clause 0x3
	global_load_b64 v[11:12], v[0:1], off
	global_load_b64 v[24:25], v[2:3], off
	;; [unrolled: 1-line block ×4, first 2 shown]
	v_mov_b32_e32 v2, v27
	v_lshlrev_b64_e32 v[0:1], 3, v[15:16]
	v_mad_co_u64_u32 v[3:4], null, s18, v10, 0
	v_mov_b32_e32 v18, v9
	s_delay_alu instid0(VALU_DEP_3) | instskip(SKIP_1) | instid1(VALU_DEP_4)
	v_add_co_u32 v0, s0, v36, v0
	s_wait_alu 0xf1ff
	v_add_co_ci_u32_e64 v1, s0, v37, v1, s0
	s_delay_alu instid0(VALU_DEP_4) | instskip(SKIP_2) | instid1(VALU_DEP_2)
	v_mad_co_u64_u32 v[7:8], null, s19, v19, v[2:3]
	v_mov_b32_e32 v2, v4
	v_lshlrev_b64_e32 v[15:16], 3, v[17:18]
	v_mad_co_u64_u32 v[17:18], null, s19, v10, v[2:3]
	v_add_nc_u32_e32 v29, 0x528, v34
	s_delay_alu instid0(VALU_DEP_3) | instskip(SKIP_1) | instid1(VALU_DEP_4)
	v_add_co_u32 v15, s0, v36, v15
	s_wait_alu 0xf1ff
	v_add_co_ci_u32_e64 v16, s0, v37, v16, s0
	s_delay_alu instid0(VALU_DEP_4) | instskip(SKIP_1) | instid1(VALU_DEP_1)
	v_mov_b32_e32 v4, v17
	v_mad_co_u64_u32 v[8:9], null, s18, v29, 0
	v_mov_b32_e32 v2, v9
	s_delay_alu instid0(VALU_DEP_1) | instskip(SKIP_3) | instid1(VALU_DEP_1)
	v_mad_co_u64_u32 v[9:10], null, s19, v29, v[2:3]
	v_mad_co_u64_u32 v[29:30], null, s18, v33, 0
	v_mov_b32_e32 v27, v7
	v_add_nc_u32_e32 v7, 0x5cd, v34
	v_mad_co_u64_u32 v[18:19], null, s18, v7, 0
	s_delay_alu instid0(VALU_DEP_1) | instskip(NEXT) | instid1(VALU_DEP_1)
	v_mov_b32_e32 v2, v19
	v_mad_co_u64_u32 v[31:32], null, s19, v7, v[2:3]
	v_lshlrev_b64_e32 v[3:4], 3, v[3:4]
	v_mov_b32_e32 v2, v30
	v_lshlrev_b64_e32 v[26:27], 3, v[26:27]
	v_lshlrev_b64_e32 v[7:8], 3, v[8:9]
	s_delay_alu instid0(VALU_DEP_3) | instskip(NEXT) | instid1(VALU_DEP_3)
	v_mad_co_u64_u32 v[32:33], null, s19, v33, v[2:3]
	v_add_co_u32 v26, s0, v36, v26
	v_mov_b32_e32 v19, v31
	s_wait_alu 0xf1ff
	v_add_co_ci_u32_e64 v27, s0, v37, v27, s0
	v_add_co_u32 v9, s0, v36, v3
	v_mov_b32_e32 v30, v32
	s_wait_alu 0xf1ff
	v_add_co_ci_u32_e64 v10, s0, v37, v4, s0
	v_lshlrev_b64_e32 v[2:3], 3, v[18:19]
	v_add_co_u32 v17, s0, v36, v7
	s_wait_alu 0xf1ff
	v_add_co_ci_u32_e64 v18, s0, v37, v8, s0
	v_lshlrev_b64_e32 v[7:8], 3, v[29:30]
	s_delay_alu instid0(VALU_DEP_4) | instskip(SKIP_2) | instid1(VALU_DEP_3)
	v_add_co_u32 v29, s0, v36, v2
	s_wait_alu 0xf1ff
	v_add_co_ci_u32_e64 v30, s0, v37, v3, s0
	v_add_co_u32 v31, s0, v36, v7
	s_wait_alu 0xf1ff
	v_add_co_ci_u32_e64 v32, s0, v37, v8, s0
	s_clause 0x6
	global_load_b64 v[7:8], v[0:1], off
	global_load_b64 v[0:1], v[15:16], off
	;; [unrolled: 1-line block ×7, first 2 shown]
	v_mov_b32_e32 v36, v34
.LBB0_13:
	s_or_b32 exec_lo, exec_lo, s1
	s_wait_loadcnt 0x9
	v_dual_add_f32 v4, v24, v11 :: v_dual_add_f32 v19, v25, v12
	s_wait_loadcnt 0x0
	v_dual_add_f32 v29, v24, v26 :: v_dual_sub_f32 v30, v25, v27
	s_delay_alu instid0(VALU_DEP_2) | instskip(NEXT) | instid1(VALU_DEP_3)
	v_dual_sub_f32 v31, v24, v26 :: v_dual_add_f32 v4, v13, v4
	v_add_f32_e32 v19, v14, v19
	s_delay_alu instid0(VALU_DEP_3) | instskip(SKIP_1) | instid1(VALU_DEP_3)
	v_dual_add_f32 v32, v25, v27 :: v_dual_mul_f32 v33, 0xbf68dda4, v30
	s_load_b64 s[2:3], s[2:3], 0x0
	v_dual_add_f32 v4, v5, v4 :: v_dual_mul_f32 v25, 0xbf0a6770, v31
	s_delay_alu instid0(VALU_DEP_3) | instskip(SKIP_1) | instid1(VALU_DEP_3)
	v_dual_add_f32 v19, v6, v19 :: v_dual_mul_f32 v24, 0xbf0a6770, v30
	v_cmp_gt_u32_e64 s0, 0x6e, v34
	v_dual_add_f32 v4, v7, v4 :: v_dual_mul_f32 v37, 0xbf68dda4, v31
	s_delay_alu instid0(VALU_DEP_3) | instskip(SKIP_1) | instid1(VALU_DEP_3)
	v_dual_add_f32 v19, v8, v19 :: v_dual_mul_f32 v38, 0xbf7d64f0, v30
	v_fma_f32 v42, 0x3f575c64, v32, -v25
	v_dual_add_f32 v4, v0, v4 :: v_dual_mul_f32 v39, 0xbf7d64f0, v31
	v_fmamk_f32 v43, v29, 0x3ed4b147, v33
	v_fma_f32 v33, 0x3ed4b147, v29, -v33
	s_delay_alu instid0(VALU_DEP_4) | instskip(NEXT) | instid1(VALU_DEP_4)
	v_add_f32_e32 v42, v42, v12
	v_add_f32_e32 v4, v2, v4
	v_fma_f32 v44, 0x3ed4b147, v32, -v37
	v_fmamk_f32 v45, v29, 0xbe11bafb, v38
	v_dual_add_f32 v52, v13, v17 :: v_dual_sub_f32 v51, v14, v18
	s_delay_alu instid0(VALU_DEP_4) | instskip(SKIP_3) | instid1(VALU_DEP_4)
	v_add_f32_e32 v4, v9, v4
	v_add_f32_e32 v19, v1, v19
	v_dual_sub_f32 v13, v13, v17 :: v_dual_add_f32 v44, v44, v12
	v_add_f32_e32 v14, v14, v18
	v_add_f32_e32 v4, v15, v4
	s_delay_alu instid0(VALU_DEP_4) | instskip(SKIP_2) | instid1(VALU_DEP_4)
	v_dual_fmamk_f32 v40, v29, 0x3f575c64, v24 :: v_dual_add_f32 v19, v3, v19
	v_fma_f32 v24, 0x3f575c64, v29, -v24
	v_fmac_f32_e32 v37, 0x3ed4b147, v32
	v_dual_add_f32 v4, v17, v4 :: v_dual_add_f32 v43, v43, v11
	s_delay_alu instid0(VALU_DEP_4) | instskip(NEXT) | instid1(VALU_DEP_4)
	v_add_f32_e32 v19, v10, v19
	v_dual_add_f32 v46, v24, v11 :: v_dual_fmac_f32 v25, 0x3f575c64, v32
	v_add_f32_e32 v40, v40, v11
	s_delay_alu instid0(VALU_DEP_3)
	v_dual_add_f32 v24, v26, v4 :: v_dual_add_f32 v19, v16, v19
	v_add_f32_e32 v4, v33, v11
	v_fma_f32 v33, 0xbe11bafb, v32, -v39
	v_fmac_f32_e32 v39, 0xbe11bafb, v32
	v_add_f32_e32 v47, v25, v12
	v_dual_add_f32 v19, v18, v19 :: v_dual_mul_f32 v26, 0xbf4178ce, v30
	s_delay_alu instid0(VALU_DEP_3) | instskip(SKIP_1) | instid1(VALU_DEP_3)
	v_dual_mul_f32 v30, 0xbe903f40, v30 :: v_dual_add_f32 v39, v39, v12
	v_mul_f32_e32 v17, 0xbf68dda4, v51
	v_add_f32_e32 v25, v27, v19
	v_add_f32_e32 v19, v37, v12
	;; [unrolled: 1-line block ×3, first 2 shown]
	v_fma_f32 v37, 0xbe11bafb, v29, -v38
	v_fmamk_f32 v38, v29, 0xbf27a4f4, v26
	v_mul_f32_e32 v45, 0xbf4178ce, v31
	v_fma_f32 v26, 0xbf27a4f4, v29, -v26
	v_fmamk_f32 v49, v29, 0xbf75a155, v30
	v_fma_f32 v29, 0xbf75a155, v29, -v30
	v_fmamk_f32 v30, v52, 0x3ed4b147, v17
	v_mul_f32_e32 v31, 0xbe903f40, v31
	v_dual_add_f32 v38, v38, v11 :: v_dual_add_f32 v33, v33, v12
	v_add_f32_e32 v26, v26, v11
	s_delay_alu instid0(VALU_DEP_4) | instskip(NEXT) | instid1(VALU_DEP_4)
	v_add_f32_e32 v30, v30, v40
	v_fma_f32 v50, 0xbf75a155, v32, -v31
	v_fmac_f32_e32 v31, 0xbf75a155, v32
	v_dual_add_f32 v37, v37, v11 :: v_dual_mul_f32 v18, 0xbf68dda4, v13
	s_delay_alu instid0(VALU_DEP_3) | instskip(SKIP_2) | instid1(VALU_DEP_2)
	v_add_f32_e32 v50, v50, v12
	v_fma_f32 v48, 0xbf27a4f4, v32, -v45
	v_fmac_f32_e32 v45, 0xbf27a4f4, v32
	v_add_f32_e32 v48, v48, v12
	s_delay_alu instid0(VALU_DEP_2)
	v_add_f32_e32 v45, v45, v12
	v_dual_add_f32 v12, v31, v12 :: v_dual_add_f32 v49, v49, v11
	v_add_f32_e32 v11, v29, v11
	v_mul_f32_e32 v29, 0xbf4178ce, v51
	v_fma_f32 v31, 0x3ed4b147, v14, -v18
	v_fmac_f32_e32 v18, 0x3ed4b147, v14
	s_delay_alu instid0(VALU_DEP_3) | instskip(NEXT) | instid1(VALU_DEP_3)
	v_fmamk_f32 v32, v52, 0xbf27a4f4, v29
	v_dual_mul_f32 v40, 0xbf4178ce, v13 :: v_dual_add_f32 v31, v31, v42
	v_mul_f32_e32 v42, 0x3e903f40, v51
	s_delay_alu instid0(VALU_DEP_4) | instskip(NEXT) | instid1(VALU_DEP_4)
	v_add_f32_e32 v18, v18, v47
	v_add_f32_e32 v32, v32, v43
	s_delay_alu instid0(VALU_DEP_4) | instskip(NEXT) | instid1(VALU_DEP_1)
	v_fma_f32 v43, 0xbf27a4f4, v14, -v40
	v_dual_fmac_f32 v40, 0xbf27a4f4, v14 :: v_dual_add_f32 v43, v43, v44
	s_delay_alu instid0(VALU_DEP_1) | instskip(SKIP_1) | instid1(VALU_DEP_1)
	v_add_f32_e32 v19, v40, v19
	v_mul_f32_e32 v40, 0x3f7d64f0, v51
	v_fmamk_f32 v44, v52, 0xbe11bafb, v40
	s_delay_alu instid0(VALU_DEP_1) | instskip(SKIP_1) | instid1(VALU_DEP_1)
	v_add_f32_e32 v38, v44, v38
	v_fma_f32 v29, 0xbf27a4f4, v52, -v29
	v_add_f32_e32 v4, v29, v4
	v_fma_f32 v17, 0x3ed4b147, v52, -v17
	s_delay_alu instid0(VALU_DEP_1) | instskip(NEXT) | instid1(VALU_DEP_1)
	v_dual_add_f32 v17, v17, v46 :: v_dual_mul_f32 v46, 0x3e903f40, v13
	v_fma_f32 v29, 0xbf75a155, v14, -v46
	s_delay_alu instid0(VALU_DEP_1) | instskip(SKIP_2) | instid1(VALU_DEP_3)
	v_dual_fmac_f32 v46, 0xbf75a155, v14 :: v_dual_add_f32 v29, v29, v33
	v_fma_f32 v40, 0xbe11bafb, v52, -v40
	v_mul_f32_e32 v33, 0x3f7d64f0, v13
	v_add_f32_e32 v39, v46, v39
	s_delay_alu instid0(VALU_DEP_3) | instskip(NEXT) | instid1(VALU_DEP_3)
	v_dual_mul_f32 v13, 0x3f0a6770, v13 :: v_dual_add_f32 v26, v40, v26
	v_fma_f32 v46, 0xbe11bafb, v14, -v33
	v_fmamk_f32 v47, v52, 0xbf75a155, v42
	v_fma_f32 v42, 0xbf75a155, v52, -v42
	s_delay_alu instid0(VALU_DEP_3) | instskip(NEXT) | instid1(VALU_DEP_2)
	v_dual_fmac_f32 v33, 0xbe11bafb, v14 :: v_dual_add_f32 v46, v46, v48
	v_dual_add_f32 v37, v42, v37 :: v_dual_mul_f32 v42, 0x3f0a6770, v51
	s_delay_alu instid0(VALU_DEP_1) | instskip(SKIP_1) | instid1(VALU_DEP_2)
	v_dual_add_f32 v27, v47, v27 :: v_dual_fmamk_f32 v44, v52, 0x3f575c64, v42
	v_fma_f32 v42, 0x3f575c64, v52, -v42
	v_add_f32_e32 v40, v44, v49
	v_dual_sub_f32 v44, v6, v16 :: v_dual_sub_f32 v47, v5, v15
	v_dual_add_f32 v33, v33, v45 :: v_dual_add_f32 v6, v6, v16
	v_fma_f32 v45, 0x3f575c64, v14, -v13
	v_fmac_f32_e32 v13, 0x3f575c64, v14
	s_delay_alu instid0(VALU_DEP_4) | instskip(SKIP_4) | instid1(VALU_DEP_4)
	v_dual_add_f32 v11, v42, v11 :: v_dual_mul_f32 v42, 0x3e903f40, v44
	v_mul_f32_e32 v14, 0xbf7d64f0, v47
	v_add_f32_e32 v5, v5, v15
	v_dual_mul_f32 v15, 0xbf7d64f0, v44 :: v_dual_add_f32 v16, v45, v50
	v_add_f32_e32 v12, v13, v12
	v_fma_f32 v13, 0xbe11bafb, v6, -v14
	s_delay_alu instid0(VALU_DEP_3) | instskip(SKIP_2) | instid1(VALU_DEP_4)
	v_dual_fmac_f32 v14, 0xbe11bafb, v6 :: v_dual_fmamk_f32 v45, v5, 0xbe11bafb, v15
	v_fma_f32 v15, 0xbe11bafb, v5, -v15
	v_mul_f32_e32 v48, 0x3f68dda4, v47
	v_add_f32_e32 v13, v13, v31
	s_delay_alu instid0(VALU_DEP_4) | instskip(SKIP_3) | instid1(VALU_DEP_4)
	v_dual_fmamk_f32 v31, v5, 0xbf75a155, v42 :: v_dual_add_f32 v14, v14, v18
	v_dual_add_f32 v30, v45, v30 :: v_dual_mul_f32 v45, 0x3e903f40, v47
	v_add_f32_e32 v15, v15, v17
	v_mul_f32_e32 v17, 0x3f68dda4, v44
	v_add_f32_e32 v18, v31, v32
	v_fma_f32 v32, 0xbf75a155, v5, -v42
	v_fma_f32 v31, 0xbf75a155, v6, -v45
	s_delay_alu instid0(VALU_DEP_4) | instskip(SKIP_1) | instid1(VALU_DEP_3)
	v_fmamk_f32 v42, v5, 0x3ed4b147, v17
	v_fma_f32 v17, 0x3ed4b147, v5, -v17
	v_dual_add_f32 v4, v32, v4 :: v_dual_add_f32 v31, v31, v43
	v_fma_f32 v32, 0x3ed4b147, v6, -v48
	s_delay_alu instid0(VALU_DEP_4) | instskip(NEXT) | instid1(VALU_DEP_4)
	v_dual_add_f32 v27, v42, v27 :: v_dual_mul_f32 v42, 0xbf0a6770, v44
	v_dual_add_f32 v17, v17, v37 :: v_dual_mul_f32 v44, 0xbf4178ce, v44
	s_delay_alu instid0(VALU_DEP_3) | instskip(NEXT) | instid1(VALU_DEP_1)
	v_dual_add_f32 v29, v32, v29 :: v_dual_fmac_f32 v48, 0x3ed4b147, v6
	v_dual_fmamk_f32 v32, v5, 0x3f575c64, v42 :: v_dual_add_f32 v37, v48, v39
	s_delay_alu instid0(VALU_DEP_1)
	v_add_f32_e32 v32, v32, v38
	v_fma_f32 v38, 0x3f575c64, v5, -v42
	v_fmamk_f32 v42, v5, 0xbf27a4f4, v44
	v_fmac_f32_e32 v45, 0xbf75a155, v6
	v_mul_f32_e32 v43, 0xbf0a6770, v47
	v_fma_f32 v5, 0xbf27a4f4, v5, -v44
	v_add_f32_e32 v26, v38, v26
	s_delay_alu instid0(VALU_DEP_4) | instskip(SKIP_3) | instid1(VALU_DEP_3)
	v_dual_add_f32 v40, v42, v40 :: v_dual_add_f32 v19, v45, v19
	v_dual_mul_f32 v45, 0xbf4178ce, v47 :: v_dual_sub_f32 v38, v8, v10
	v_fma_f32 v39, 0x3f575c64, v6, -v43
	v_add_f32_e32 v5, v5, v11
	v_fma_f32 v42, 0xbf27a4f4, v6, -v45
	v_fmac_f32_e32 v43, 0x3f575c64, v6
	v_fmac_f32_e32 v45, 0xbf27a4f4, v6
	v_add_f32_e32 v6, v8, v10
	s_delay_alu instid0(VALU_DEP_3) | instskip(SKIP_3) | instid1(VALU_DEP_1)
	v_dual_add_f32 v16, v42, v16 :: v_dual_add_f32 v33, v43, v33
	v_add_f32_e32 v43, v7, v9
	v_sub_f32_e32 v7, v7, v9
	v_mul_f32_e32 v9, 0xbf4178ce, v38
	v_fmamk_f32 v10, v43, 0xbf27a4f4, v9
	s_delay_alu instid0(VALU_DEP_1) | instskip(SKIP_2) | instid1(VALU_DEP_2)
	v_add_f32_e32 v10, v10, v30
	v_mul_f32_e32 v30, 0x3f7d64f0, v38
	v_dual_add_f32 v39, v39, v46 :: v_dual_mul_f32 v8, 0xbf4178ce, v7
	v_fmamk_f32 v42, v43, 0xbe11bafb, v30
	v_fma_f32 v30, 0xbe11bafb, v43, -v30
	s_delay_alu instid0(VALU_DEP_1) | instskip(SKIP_3) | instid1(VALU_DEP_2)
	v_add_f32_e32 v4, v30, v4
	v_add_f32_e32 v11, v45, v12
	v_fma_f32 v12, 0xbf27a4f4, v6, -v8
	v_fmac_f32_e32 v8, 0xbf27a4f4, v6
	v_add_f32_e32 v12, v12, v13
	v_fma_f32 v9, 0xbf27a4f4, v43, -v9
	s_delay_alu instid0(VALU_DEP_3) | instskip(NEXT) | instid1(VALU_DEP_2)
	v_dual_mul_f32 v13, 0x3f7d64f0, v7 :: v_dual_add_f32 v8, v8, v14
	v_add_f32_e32 v9, v9, v15
	s_delay_alu instid0(VALU_DEP_2) | instskip(SKIP_1) | instid1(VALU_DEP_2)
	v_fma_f32 v15, 0xbe11bafb, v6, -v13
	v_mul_f32_e32 v14, 0xbf0a6770, v38
	v_dual_add_f32 v18, v42, v18 :: v_dual_add_f32 v15, v15, v31
	v_mul_f32_e32 v31, 0xbf0a6770, v7
	s_delay_alu instid0(VALU_DEP_3) | instskip(SKIP_2) | instid1(VALU_DEP_4)
	v_fmamk_f32 v42, v43, 0x3f575c64, v14
	v_fma_f32 v14, 0x3f575c64, v43, -v14
	v_fmac_f32_e32 v13, 0xbe11bafb, v6
	v_fma_f32 v30, 0x3f575c64, v6, -v31
	s_delay_alu instid0(VALU_DEP_3) | instskip(NEXT) | instid1(VALU_DEP_3)
	v_dual_fmac_f32 v31, 0x3f575c64, v6 :: v_dual_add_f32 v14, v14, v17
	v_add_f32_e32 v13, v13, v19
	v_add_f32_e32 v19, v42, v27
	v_dual_mul_f32 v27, 0xbe903f40, v38 :: v_dual_mul_f32 v42, 0xbe903f40, v7
	s_delay_alu instid0(VALU_DEP_1) | instskip(SKIP_2) | instid1(VALU_DEP_4)
	v_dual_add_f32 v29, v30, v29 :: v_dual_fmamk_f32 v44, v43, 0xbf75a155, v27
	v_fma_f32 v27, 0xbf75a155, v43, -v27
	v_mul_f32_e32 v7, 0x3f68dda4, v7
	v_fma_f32 v17, 0xbf75a155, v6, -v42
	s_delay_alu instid0(VALU_DEP_4) | instskip(SKIP_4) | instid1(VALU_DEP_4)
	v_dual_add_f32 v30, v31, v37 :: v_dual_add_f32 v31, v44, v32
	v_mul_f32_e32 v32, 0x3f68dda4, v38
	v_add_f32_e32 v26, v27, v26
	v_fma_f32 v38, 0x3ed4b147, v6, -v7
	v_dual_add_f32 v17, v17, v39 :: v_dual_fmac_f32 v42, 0xbf75a155, v6
	v_fmamk_f32 v37, v43, 0x3ed4b147, v32
	s_delay_alu instid0(VALU_DEP_3)
	v_dual_add_f32 v39, v0, v2 :: v_dual_add_f32 v38, v38, v16
	v_sub_f32_e32 v16, v0, v2
	v_fma_f32 v0, 0x3ed4b147, v43, -v32
	v_add_f32_e32 v32, v1, v3
	v_sub_f32_e32 v27, v1, v3
	v_add_f32_e32 v33, v42, v33
	s_delay_alu instid0(VALU_DEP_4) | instskip(NEXT) | instid1(VALU_DEP_3)
	v_dual_add_f32 v37, v37, v40 :: v_dual_add_f32 v42, v0, v5
	v_mul_f32_e32 v40, 0xbe903f40, v27
	s_delay_alu instid0(VALU_DEP_1) | instskip(SKIP_1) | instid1(VALU_DEP_2)
	v_fmamk_f32 v2, v39, 0xbf75a155, v40
	v_mul_f32_e32 v3, 0xbe903f40, v16
	v_dual_mul_f32 v5, 0x3f0a6770, v27 :: v_dual_add_f32 v0, v2, v10
	v_fma_f32 v2, 0xbf75a155, v39, -v40
	v_fmac_f32_e32 v7, 0x3ed4b147, v6
	s_delay_alu instid0(VALU_DEP_4) | instskip(SKIP_2) | instid1(VALU_DEP_4)
	v_fma_f32 v1, 0xbf75a155, v32, -v3
	v_mul_f32_e32 v6, 0x3f0a6770, v16
	v_fmamk_f32 v40, v39, 0x3f575c64, v5
	v_dual_add_f32 v10, v2, v9 :: v_dual_add_f32 v7, v7, v11
	v_fmac_f32_e32 v3, 0xbf75a155, v32
	v_add_f32_e32 v1, v1, v12
	v_fma_f32 v9, 0x3f575c64, v32, -v6
	v_add_f32_e32 v2, v40, v18
	v_fma_f32 v5, 0x3f575c64, v39, -v5
	v_dual_add_f32 v11, v3, v8 :: v_dual_mul_f32 v12, 0xbf4178ce, v27
	s_delay_alu instid0(VALU_DEP_4) | instskip(SKIP_1) | instid1(VALU_DEP_4)
	v_dual_add_f32 v3, v9, v15 :: v_dual_fmac_f32 v6, 0x3f575c64, v32
	v_mul_f32_e32 v40, 0xbf4178ce, v16
	v_dual_add_f32 v8, v5, v4 :: v_dual_mul_f32 v15, 0x3f68dda4, v27
	s_delay_alu instid0(VALU_DEP_3) | instskip(NEXT) | instid1(VALU_DEP_3)
	v_dual_mul_f32 v18, 0x3f68dda4, v16 :: v_dual_add_f32 v9, v6, v13
	v_fma_f32 v5, 0xbf27a4f4, v32, -v40
	v_fmamk_f32 v4, v39, 0xbf27a4f4, v12
	v_fma_f32 v6, 0xbf27a4f4, v39, -v12
	s_delay_alu instid0(VALU_DEP_4) | instskip(NEXT) | instid1(VALU_DEP_4)
	v_fma_f32 v13, 0x3ed4b147, v32, -v18
	v_dual_fmamk_f32 v12, v39, 0x3ed4b147, v15 :: v_dual_add_f32 v5, v5, v29
	s_delay_alu instid0(VALU_DEP_4) | instskip(NEXT) | instid1(VALU_DEP_4)
	v_add_f32_e32 v4, v4, v19
	v_dual_add_f32 v6, v6, v14 :: v_dual_mul_f32 v19, 0xbf7d64f0, v27
	v_mul_f32_e32 v27, 0xbf7d64f0, v16
	s_delay_alu instid0(VALU_DEP_4) | instskip(SKIP_1) | instid1(VALU_DEP_3)
	v_dual_add_f32 v13, v13, v17 :: v_dual_add_f32 v12, v12, v31
	v_fma_f32 v14, 0x3ed4b147, v39, -v15
	v_fma_f32 v17, 0xbe11bafb, v32, -v27
	s_delay_alu instid0(VALU_DEP_2) | instskip(SKIP_1) | instid1(VALU_DEP_3)
	v_dual_fmac_f32 v27, 0xbe11bafb, v32 :: v_dual_add_f32 v14, v14, v26
	v_mad_u32_u24 v26, 0x58, v34, 0
	v_dual_add_f32 v17, v17, v38 :: v_dual_fmac_f32 v18, 0x3ed4b147, v32
	v_fmac_f32_e32 v40, 0xbf27a4f4, v32
	v_lshl_add_u32 v38, v35, 3, 0
	s_delay_alu instid0(VALU_DEP_3)
	v_dual_add_f32 v15, v18, v33 :: v_dual_fmamk_f32 v16, v39, 0xbe11bafb, v19
	v_fma_f32 v18, 0xbe11bafb, v39, -v19
	v_add_f32_e32 v19, v27, v7
	v_add_f32_e32 v7, v40, v30
	v_mul_i32_i24_e32 v27, 0xffffffb0, v34
	v_add_f32_e32 v16, v16, v37
	v_add_f32_e32 v18, v18, v42
	v_lshl_add_u32 v37, v41, 3, 0
	v_lshl_add_u32 v40, v28, 3, 0
	v_add_nc_u32_e32 v39, v26, v27
	ds_store_2addr_b64 v26, v[24:25], v[0:1] offset1:1
	ds_store_2addr_b64 v26, v[2:3], v[4:5] offset0:2 offset1:3
	ds_store_2addr_b64 v26, v[12:13], v[16:17] offset0:4 offset1:5
	;; [unrolled: 1-line block ×3, first 2 shown]
	v_mad_i32_i24 v18, 0xffffffb0, v34, v26
	ds_store_2addr_b64 v26, v[6:7], v[8:9] offset0:8 offset1:9
	ds_store_b64 v26, v[10:11] offset:80
	global_wb scope:SCOPE_SE
	s_wait_dscnt 0x0
	s_wait_kmcnt 0x0
	s_barrier_signal -1
	s_barrier_wait -1
	v_add_nc_u32_e32 v0, 0x1200, v18
	v_add_nc_u32_e32 v4, 0x2400, v18
	global_inv scope:SCOPE_SE
                                        ; implicit-def: $vgpr27
	ds_load_2addr_b64 v[0:3], v0 offset0:29 offset1:194
	ds_load_2addr_b64 v[4:7], v4 offset0:58 offset1:223
	ds_load_b64 v[14:15], v37
	ds_load_b64 v[16:17], v18 offset:7480
	ds_load_b64 v[24:25], v18
	ds_load_b64 v[12:13], v38
	ds_load_b64 v[18:19], v18 offset:12320
	s_and_saveexec_b32 s1, s0
	s_cbranch_execz .LBB0_15
; %bb.14:
	ds_load_b64 v[10:11], v39 offset:8800
	ds_load_b64 v[8:9], v40
	ds_load_b64 v[26:27], v39 offset:13640
.LBB0_15:
	s_wait_alu 0xfffe
	s_or_b32 exec_lo, exec_lo, s1
	v_and_b32_e32 v42, 0xffff, v35
	s_delay_alu instid0(VALU_DEP_1) | instskip(NEXT) | instid1(VALU_DEP_1)
	v_mul_u32_u24_e32 v30, 0xba2f, v42
	v_lshrrev_b32_e32 v30, 19, v30
	s_delay_alu instid0(VALU_DEP_1) | instskip(SKIP_1) | instid1(VALU_DEP_2)
	v_mul_lo_u16 v31, v30, 11
	v_mul_u32_u24_e32 v30, 0x108, v30
	v_sub_nc_u16 v31, v35, v31
	s_delay_alu instid0(VALU_DEP_1) | instskip(NEXT) | instid1(VALU_DEP_1)
	v_and_b32_e32 v31, 0xffff, v31
	v_lshlrev_b32_e32 v43, 4, v31
	v_lshlrev_b32_e32 v31, 3, v31
	global_load_b128 v[45:48], v43, s[8:9]
	v_and_b32_e32 v29, 0xffff, v28
	v_add3_u32 v63, 0, v30, v31
	s_delay_alu instid0(VALU_DEP_2) | instskip(NEXT) | instid1(VALU_DEP_1)
	v_mul_u32_u24_e32 v29, 0xba2f, v29
	v_lshrrev_b32_e32 v29, 19, v29
	s_delay_alu instid0(VALU_DEP_1) | instskip(NEXT) | instid1(VALU_DEP_1)
	v_mul_lo_u16 v33, v29, 11
	v_sub_nc_u16 v28, v28, v33
	s_delay_alu instid0(VALU_DEP_1) | instskip(NEXT) | instid1(VALU_DEP_1)
	v_and_b32_e32 v28, 0xffff, v28
	v_lshlrev_b32_e32 v49, 4, v28
	global_load_b128 v[49:52], v49, s[8:9]
	v_and_b32_e32 v44, 0xff, v34
	v_and_b32_e32 v43, 0xffff, v41
	s_delay_alu instid0(VALU_DEP_2) | instskip(NEXT) | instid1(VALU_DEP_1)
	v_mul_lo_u16 v32, 0x75, v44
	v_lshrrev_b16 v32, 8, v32
	s_delay_alu instid0(VALU_DEP_1) | instskip(NEXT) | instid1(VALU_DEP_1)
	v_sub_nc_u16 v33, v34, v32
	v_lshrrev_b16 v33, 1, v33
	s_delay_alu instid0(VALU_DEP_1) | instskip(NEXT) | instid1(VALU_DEP_1)
	v_and_b32_e32 v33, 0x7f, v33
	v_add_nc_u16 v32, v33, v32
	s_delay_alu instid0(VALU_DEP_1) | instskip(NEXT) | instid1(VALU_DEP_1)
	v_lshrrev_b16 v32, 3, v32
	v_mul_lo_u16 v53, v32, 11
	v_and_b32_e32 v32, 0xffff, v32
	s_delay_alu instid0(VALU_DEP_2) | instskip(NEXT) | instid1(VALU_DEP_2)
	v_sub_nc_u16 v53, v34, v53
	v_mul_u32_u24_e32 v30, 0x108, v32
	s_wait_loadcnt_dscnt 0x103
	v_mul_f32_e32 v32, v46, v17
	s_delay_alu instid0(VALU_DEP_1) | instskip(NEXT) | instid1(VALU_DEP_1)
	v_dual_fmac_f32 v32, v45, v16 :: v_dual_and_b32 v61, 0xff, v53
	v_lshlrev_b32_e32 v31, 3, v61
	v_lshlrev_b32_e32 v53, 4, v61
	s_delay_alu instid0(VALU_DEP_2)
	v_add3_u32 v61, 0, v30, v31
	s_wait_loadcnt_dscnt 0x0
	v_mul_f32_e32 v30, v27, v52
	v_mul_f32_e32 v52, v26, v52
	v_mul_u32_u24_e32 v33, 0xba2f, v43
	v_mul_f32_e32 v31, v11, v50
	v_mul_f32_e32 v50, v10, v50
	v_fmac_f32_e32 v30, v26, v51
	s_delay_alu instid0(VALU_DEP_4) | instskip(NEXT) | instid1(VALU_DEP_4)
	v_lshrrev_b32_e32 v33, 19, v33
	v_fmac_f32_e32 v31, v10, v49
	s_delay_alu instid0(VALU_DEP_4) | instskip(SKIP_1) | instid1(VALU_DEP_4)
	v_fma_f32 v11, v11, v49, -v50
	v_fma_f32 v10, v27, v51, -v52
	v_mul_lo_u16 v54, v33, 11
	v_mul_u32_u24_e32 v33, 0x108, v33
	v_sub_f32_e32 v49, v31, v30
	s_delay_alu instid0(VALU_DEP_3) | instskip(NEXT) | instid1(VALU_DEP_1)
	v_sub_nc_u16 v54, v41, v54
	v_and_b32_e32 v62, 0xffff, v54
	s_delay_alu instid0(VALU_DEP_1) | instskip(SKIP_1) | instid1(VALU_DEP_1)
	v_lshlrev_b32_e32 v57, 4, v62
	v_lshlrev_b32_e32 v62, 3, v62
	v_add3_u32 v62, 0, v33, v62
	v_dual_mul_f32 v33, v46, v16 :: v_dual_mul_f32 v46, v48, v19
	v_mul_f32_e32 v48, v48, v18
	s_delay_alu instid0(VALU_DEP_2) | instskip(NEXT) | instid1(VALU_DEP_3)
	v_fma_f32 v16, v45, v17, -v33
	v_fmac_f32_e32 v46, v47, v18
	s_clause 0x1
	global_load_b128 v[53:56], v53, s[8:9]
	global_load_b128 v[57:60], v57, s[8:9]
	v_fma_f32 v17, v47, v19, -v48
	v_dual_add_f32 v48, v11, v10 :: v_dual_add_f32 v27, v13, v16
	v_dual_add_f32 v18, v12, v32 :: v_dual_sub_f32 v47, v11, v10
	s_delay_alu instid0(VALU_DEP_3) | instskip(SKIP_2) | instid1(VALU_DEP_4)
	v_sub_f32_e32 v33, v16, v17
	v_add_f32_e32 v19, v32, v46
	v_add_f32_e32 v16, v16, v17
	v_dual_add_f32 v26, v18, v46 :: v_dual_add_f32 v27, v27, v17
	global_wb scope:SCOPE_SE
	s_wait_loadcnt 0x0
	v_fma_f32 v12, -0.5, v19, v12
	v_sub_f32_e32 v45, v32, v46
	v_dual_add_f32 v32, v31, v30 :: v_dual_fmac_f32 v13, -0.5, v16
	v_fma_f32 v19, -0.5, v48, v9
	s_barrier_signal -1
	s_barrier_wait -1
	s_delay_alu instid0(VALU_DEP_2) | instskip(SKIP_2) | instid1(VALU_DEP_3)
	v_fma_f32 v18, -0.5, v32, v8
	v_fmamk_f32 v32, v33, 0xbf5db3d7, v12
	v_dual_fmac_f32 v12, 0x3f5db3d7, v33 :: v_dual_fmamk_f32 v33, v45, 0x3f5db3d7, v13
	v_dual_fmac_f32 v13, 0xbf5db3d7, v45 :: v_dual_fmamk_f32 v16, v47, 0xbf5db3d7, v18
	v_dual_fmamk_f32 v17, v49, 0x3f5db3d7, v19 :: v_dual_fmac_f32 v18, 0x3f5db3d7, v47
	v_fmac_f32_e32 v19, 0xbf5db3d7, v49
	global_inv scope:SCOPE_SE
	v_mul_f32_e32 v46, v54, v0
	v_dual_mul_f32 v45, v54, v1 :: v_dual_mul_f32 v48, v56, v4
	v_dual_mul_f32 v47, v56, v5 :: v_dual_mul_f32 v50, v58, v3
	;; [unrolled: 1-line block ×3, first 2 shown]
	s_delay_alu instid0(VALU_DEP_3) | instskip(SKIP_1) | instid1(VALU_DEP_4)
	v_dual_mul_f32 v54, v60, v6 :: v_dual_fmac_f32 v45, v53, v0
	v_fma_f32 v0, v53, v1, -v46
	v_dual_fmac_f32 v47, v55, v4 :: v_dual_fmac_f32 v50, v57, v2
	v_fma_f32 v1, v55, v5, -v48
	v_fma_f32 v2, v57, v3, -v51
	s_delay_alu instid0(VALU_DEP_3) | instskip(SKIP_2) | instid1(VALU_DEP_3)
	v_dual_fmac_f32 v52, v59, v6 :: v_dual_add_f32 v5, v45, v47
	v_fma_f32 v3, v59, v7, -v54
	v_dual_add_f32 v4, v24, v45 :: v_dual_add_f32 v7, v25, v0
	v_dual_add_f32 v46, v0, v1 :: v_dual_add_f32 v51, v50, v52
	v_dual_sub_f32 v6, v0, v1 :: v_dual_sub_f32 v45, v45, v47
	s_delay_alu instid0(VALU_DEP_3) | instskip(SKIP_1) | instid1(VALU_DEP_4)
	v_dual_add_f32 v48, v14, v50 :: v_dual_add_f32 v1, v7, v1
	v_add_f32_e32 v55, v2, v3
	v_dual_sub_f32 v50, v50, v52 :: v_dual_fmac_f32 v25, -0.5, v46
	v_fma_f32 v24, -0.5, v5, v24
	v_dual_sub_f32 v53, v2, v3 :: v_dual_add_f32 v54, v15, v2
	v_add_f32_e32 v2, v48, v52
	v_fma_f32 v14, -0.5, v51, v14
	v_fmac_f32_e32 v15, -0.5, v55
	v_dual_add_f32 v0, v4, v47 :: v_dual_fmamk_f32 v5, v45, 0x3f5db3d7, v25
	v_fmamk_f32 v4, v6, 0xbf5db3d7, v24
	v_dual_add_f32 v3, v54, v3 :: v_dual_fmac_f32 v24, 0x3f5db3d7, v6
	v_dual_fmac_f32 v25, 0xbf5db3d7, v45 :: v_dual_fmamk_f32 v6, v53, 0xbf5db3d7, v14
	v_dual_fmac_f32 v14, 0x3f5db3d7, v53 :: v_dual_fmamk_f32 v7, v50, 0x3f5db3d7, v15
	v_fmac_f32_e32 v15, 0xbf5db3d7, v50
	ds_store_2addr_b64 v61, v[0:1], v[4:5] offset1:11
	ds_store_b64 v61, v[24:25] offset:176
	ds_store_2addr_b64 v62, v[2:3], v[6:7] offset1:11
	ds_store_b64 v62, v[14:15] offset:176
	;; [unrolled: 2-line block ×3, first 2 shown]
	s_and_saveexec_b32 s1, s0
	s_cbranch_execz .LBB0_17
; %bb.16:
	v_mul_lo_u16 v0, v29, 33
	v_dual_add_f32 v2, v8, v31 :: v_dual_lshlrev_b32 v3, 3, v28
	s_delay_alu instid0(VALU_DEP_2) | instskip(NEXT) | instid1(VALU_DEP_1)
	v_dual_add_f32 v1, v9, v11 :: v_dual_and_b32 v0, 0xffff, v0
	v_dual_add_f32 v1, v1, v10 :: v_dual_lshlrev_b32 v4, 3, v0
	s_delay_alu instid0(VALU_DEP_3) | instskip(NEXT) | instid1(VALU_DEP_2)
	v_add_f32_e32 v0, v2, v30
	v_add3_u32 v2, 0, v3, v4
	ds_store_2addr_b64 v2, v[0:1], v[16:17] offset1:11
	ds_store_b64 v2, v[18:19] offset:176
.LBB0_17:
	s_wait_alu 0xfffe
	s_or_b32 exec_lo, exec_lo, s1
	v_add_nc_u32_e32 v0, 0xa00, v39
	v_add_nc_u32_e32 v1, 0x1400, v39
	;; [unrolled: 1-line block ×4, first 2 shown]
	global_wb scope:SCOPE_SE
	s_wait_dscnt 0x0
	s_barrier_signal -1
	s_barrier_wait -1
	global_inv scope:SCOPE_SE
	ds_load_2addr_b64 v[12:15], v0 offset0:43 offset1:208
	ds_load_2addr_b64 v[8:11], v1 offset0:86 offset1:251
	;; [unrolled: 1-line block ×4, first 2 shown]
	ds_load_b64 v[32:33], v39
	ds_load_b64 v[30:31], v37
	v_cmp_gt_u32_e64 s0, 33, v34
                                        ; implicit-def: $vgpr25
                                        ; implicit-def: $vgpr29
                                        ; implicit-def: $vgpr27
	s_delay_alu instid0(VALU_DEP_1)
	s_and_saveexec_b32 s1, s0
	s_cbranch_execz .LBB0_19
; %bb.18:
	ds_load_b64 v[16:17], v38
	ds_load_b64 v[18:19], v39 offset:5544
	ds_load_b64 v[26:27], v39 offset:8448
	;; [unrolled: 1-line block ×4, first 2 shown]
.LBB0_19:
	s_wait_alu 0xfffe
	s_or_b32 exec_lo, exec_lo, s1
	v_mul_lo_u16 v44, 0xf9, v44
	v_mul_u32_u24_e32 v43, 0xf83f, v43
	s_delay_alu instid0(VALU_DEP_2) | instskip(NEXT) | instid1(VALU_DEP_2)
	v_lshrrev_b16 v59, 13, v44
	v_lshrrev_b32_e32 v60, 21, v43
	s_delay_alu instid0(VALU_DEP_2) | instskip(NEXT) | instid1(VALU_DEP_1)
	v_mul_lo_u16 v44, v59, 33
	v_sub_nc_u16 v43, v34, v44
	s_delay_alu instid0(VALU_DEP_3) | instskip(SKIP_1) | instid1(VALU_DEP_3)
	v_mul_lo_u16 v44, v60, 33
	v_mul_u32_u24_e32 v60, 0x528, v60
	v_and_b32_e32 v61, 0xff, v43
	s_delay_alu instid0(VALU_DEP_3) | instskip(NEXT) | instid1(VALU_DEP_2)
	v_sub_nc_u16 v41, v41, v44
	v_lshlrev_b32_e32 v47, 5, v61
	global_load_b128 v[43:46], v47, s[8:9] offset:176
	v_and_b32_e32 v41, 0xffff, v41
	s_delay_alu instid0(VALU_DEP_1) | instskip(SKIP_1) | instid1(VALU_DEP_1)
	v_lshlrev_b32_e32 v55, 5, v41
	v_lshlrev_b32_e32 v41, 3, v41
	v_add3_u32 v41, 0, v60, v41
	s_wait_loadcnt_dscnt 0x5
	v_mul_f32_e32 v60, v44, v13
	v_mul_f32_e32 v44, v44, v12
	s_clause 0x2
	global_load_b128 v[47:50], v47, s[8:9] offset:192
	global_load_b128 v[51:54], v55, s[8:9] offset:176
	;; [unrolled: 1-line block ×3, first 2 shown]
	v_and_b32_e32 v59, 0xffff, v59
	v_lshlrev_b32_e32 v61, 3, v61
	global_wb scope:SCOPE_SE
	s_wait_loadcnt_dscnt 0x0
	s_barrier_signal -1
	s_barrier_wait -1
	global_inv scope:SCOPE_SE
	v_fmac_f32_e32 v60, v43, v12
	v_fma_f32 v12, v43, v13, -v44
	v_mul_f32_e32 v62, v48, v5
	v_mul_u32_u24_e32 v59, 0x528, v59
	v_dual_mul_f32 v48, v48, v4 :: v_dual_mul_f32 v63, v50, v1
	v_mul_f32_e32 v66, v56, v7
	v_mul_f32_e32 v50, v50, v0
	s_delay_alu instid0(VALU_DEP_4)
	v_add3_u32 v59, 0, v59, v61
	v_mul_f32_e32 v61, v46, v9
	v_mul_f32_e32 v46, v46, v8
	v_mul_f32_e32 v64, v52, v15
	v_dual_mul_f32 v52, v52, v14 :: v_dual_mul_f32 v65, v54, v11
	v_mul_f32_e32 v56, v56, v6
	v_dual_mul_f32 v54, v54, v10 :: v_dual_fmac_f32 v61, v45, v8
	v_mul_f32_e32 v67, v58, v3
	v_dual_mul_f32 v58, v58, v2 :: v_dual_fmac_f32 v63, v49, v0
	v_fma_f32 v8, v45, v9, -v46
	v_dual_fmac_f32 v62, v47, v4 :: v_dual_fmac_f32 v65, v53, v10
	v_fma_f32 v5, v47, v5, -v48
	v_fma_f32 v13, v49, v1, -v50
	v_dual_fmac_f32 v64, v51, v14 :: v_dual_add_f32 v1, v32, v60
	v_fma_f32 v0, v51, v15, -v52
	v_fma_f32 v4, v53, v11, -v54
	v_dual_fmac_f32 v66, v55, v6 :: v_dual_sub_f32 v43, v8, v5
	v_fma_f32 v9, v55, v7, -v56
	v_dual_fmac_f32 v67, v57, v2 :: v_dual_sub_f32 v14, v12, v13
	v_fma_f32 v15, v57, v3, -v58
	v_dual_add_f32 v2, v61, v62 :: v_dual_sub_f32 v3, v60, v61
	v_dual_sub_f32 v6, v63, v62 :: v_dual_add_f32 v7, v60, v63
	v_dual_add_f32 v44, v33, v12 :: v_dual_add_f32 v45, v8, v5
	v_dual_add_f32 v50, v12, v13 :: v_dual_add_f32 v53, v65, v66
	v_dual_sub_f32 v10, v61, v60 :: v_dual_sub_f32 v11, v62, v63
	v_dual_add_f32 v52, v30, v64 :: v_dual_sub_f32 v55, v4, v9
	v_dual_sub_f32 v56, v64, v65 :: v_dual_add_f32 v69, v31, v0
	v_dual_add_f32 v58, v64, v67 :: v_dual_sub_f32 v71, v65, v66
	v_dual_add_f32 v70, v4, v9 :: v_dual_add_f32 v77, v3, v6
	v_dual_sub_f32 v48, v12, v8 :: v_dual_sub_f32 v49, v13, v5
	v_add_f32_e32 v74, v0, v15
	v_dual_sub_f32 v46, v60, v63 :: v_dual_sub_f32 v47, v61, v62
	v_dual_sub_f32 v54, v0, v15 :: v_dual_sub_f32 v57, v67, v66
	;; [unrolled: 1-line block ×4, first 2 shown]
	v_dual_sub_f32 v64, v64, v67 :: v_dual_add_f32 v61, v1, v61
	v_sub_f32_e32 v72, v0, v4
	v_sub_f32_e32 v76, v9, v15
	v_fma_f32 v0, -0.5, v2, v32
	v_fma_f32 v32, -0.5, v7, v32
	v_add_f32_e32 v7, v44, v8
	v_fma_f32 v1, -0.5, v45, v33
	v_dual_sub_f32 v12, v8, v12 :: v_dual_sub_f32 v51, v5, v13
	v_dual_fmac_f32 v33, -0.5, v50 :: v_dual_add_f32 v78, v10, v11
	v_add_f32_e32 v8, v52, v65
	v_fma_f32 v2, -0.5, v53, v30
	v_fma_f32 v30, -0.5, v58, v30
	v_add_f32_e32 v11, v69, v4
	v_fma_f32 v3, -0.5, v70, v31
	v_dual_add_f32 v44, v48, v49 :: v_dual_fmac_f32 v31, -0.5, v74
	v_add_f32_e32 v48, v56, v57
	v_fmamk_f32 v4, v14, 0xbf737871, v0
	v_dual_add_f32 v52, v7, v5 :: v_dual_fmamk_f32 v5, v46, 0x3f737871, v1
	v_dual_add_f32 v45, v12, v51 :: v_dual_add_f32 v12, v61, v62
	v_dual_add_f32 v51, v75, v76 :: v_dual_fmac_f32 v0, 0x3f737871, v14
	v_dual_fmamk_f32 v6, v43, 0x3f737871, v32 :: v_dual_add_f32 v53, v8, v66
	v_dual_fmac_f32 v32, 0xbf737871, v43 :: v_dual_fmamk_f32 v7, v47, 0xbf737871, v33
	v_dual_fmac_f32 v33, 0x3f737871, v47 :: v_dual_add_f32 v50, v72, v73
	v_dual_fmac_f32 v1, 0xbf737871, v46 :: v_dual_fmamk_f32 v8, v54, 0xbf737871, v2
	v_dual_add_f32 v56, v11, v9 :: v_dual_fmac_f32 v5, 0x3f167918, v47
	v_dual_fmamk_f32 v9, v64, 0x3f737871, v3 :: v_dual_fmamk_f32 v10, v55, 0x3f737871, v30
	v_dual_add_f32 v13, v52, v13 :: v_dual_fmac_f32 v30, 0xbf737871, v55
	v_fmac_f32_e32 v2, 0x3f737871, v54
	v_fmamk_f32 v11, v71, 0xbf737871, v31
	v_fmac_f32_e32 v31, 0x3f737871, v71
	v_fmac_f32_e32 v3, 0xbf737871, v64
	v_dual_fmac_f32 v4, 0xbf167918, v43 :: v_dual_fmac_f32 v33, 0xbf167918, v46
	v_dual_add_f32 v12, v12, v63 :: v_dual_fmac_f32 v7, 0x3f167918, v46
	v_dual_fmac_f32 v6, 0xbf167918, v14 :: v_dual_fmac_f32 v1, 0xbf167918, v47
	v_dual_fmac_f32 v32, 0x3f167918, v14 :: v_dual_add_f32 v15, v56, v15
	v_dual_fmac_f32 v0, 0x3f167918, v43 :: v_dual_fmac_f32 v11, 0x3f167918, v64
	v_fmac_f32_e32 v8, 0xbf167918, v55
	v_dual_fmac_f32 v30, 0x3f167918, v54 :: v_dual_fmac_f32 v9, 0x3f167918, v71
	v_dual_add_f32 v49, v60, v68 :: v_dual_add_f32 v14, v53, v67
	v_dual_fmac_f32 v31, 0xbf167918, v64 :: v_dual_fmac_f32 v10, 0xbf167918, v54
	v_fmac_f32_e32 v3, 0xbf167918, v71
	v_fmac_f32_e32 v2, 0x3f167918, v55
	v_dual_fmac_f32 v4, 0x3e9e377a, v77 :: v_dual_fmac_f32 v5, 0x3e9e377a, v44
	v_dual_fmac_f32 v6, 0x3e9e377a, v78 :: v_dual_fmac_f32 v7, 0x3e9e377a, v45
	;; [unrolled: 1-line block ×8, first 2 shown]
	ds_store_2addr_b64 v59, v[12:13], v[4:5] offset1:33
	ds_store_2addr_b64 v59, v[6:7], v[32:33] offset0:66 offset1:99
	ds_store_b64 v59, v[0:1] offset:1056
	ds_store_2addr_b64 v41, v[14:15], v[8:9] offset1:33
	ds_store_2addr_b64 v41, v[10:11], v[30:31] offset0:66 offset1:99
	ds_store_b64 v41, v[2:3] offset:1056
	s_and_saveexec_b32 s1, s0
	s_cbranch_execz .LBB0_21
; %bb.20:
	v_mul_u32_u24_e32 v0, 0xf83f, v42
	s_delay_alu instid0(VALU_DEP_1) | instskip(NEXT) | instid1(VALU_DEP_1)
	v_lshrrev_b32_e32 v0, 21, v0
	v_mul_lo_u16 v0, v0, 33
	s_delay_alu instid0(VALU_DEP_1) | instskip(NEXT) | instid1(VALU_DEP_1)
	v_sub_nc_u16 v0, v35, v0
	v_and_b32_e32 v8, 0xffff, v0
	s_delay_alu instid0(VALU_DEP_1)
	v_lshlrev_b32_e32 v4, 5, v8
	s_clause 0x1
	global_load_b128 v[0:3], v4, s[8:9] offset:176
	global_load_b128 v[4:7], v4, s[8:9] offset:192
	s_wait_loadcnt 0x1
	v_mul_f32_e32 v9, v18, v1
	s_wait_loadcnt 0x0
	v_mul_f32_e32 v13, v24, v7
	v_lshl_add_u32 v10, v8, 3, 0
	v_dual_mul_f32 v1, v19, v1 :: v_dual_mul_f32 v30, v25, v7
	v_mul_f32_e32 v8, v26, v3
	s_delay_alu instid0(VALU_DEP_3) | instskip(SKIP_1) | instid1(VALU_DEP_3)
	v_dual_mul_f32 v12, v28, v5 :: v_dual_add_nc_u32 v11, 0x3000, v10
	v_dual_mul_f32 v14, v27, v3 :: v_dual_mul_f32 v15, v29, v5
	v_fma_f32 v5, v27, v2, -v8
	v_fma_f32 v3, v19, v0, -v9
	;; [unrolled: 1-line block ×3, first 2 shown]
	v_fmac_f32_e32 v1, v18, v0
	v_fma_f32 v8, v29, v4, -v12
	v_dual_fmac_f32 v14, v26, v2 :: v_dual_fmac_f32 v15, v28, v4
	v_fmac_f32_e32 v30, v24, v6
	v_dual_add_f32 v4, v3, v9 :: v_dual_add_f32 v19, v17, v3
	s_delay_alu instid0(VALU_DEP_4) | instskip(NEXT) | instid1(VALU_DEP_3)
	v_sub_f32_e32 v7, v9, v8
	v_dual_sub_f32 v0, v5, v3 :: v_dual_sub_f32 v25, v15, v30
	v_dual_sub_f32 v2, v8, v9 :: v_dual_sub_f32 v13, v1, v30
	v_dual_add_f32 v18, v5, v8 :: v_dual_sub_f32 v31, v30, v15
	s_delay_alu instid0(VALU_DEP_2)
	v_dual_sub_f32 v24, v14, v1 :: v_dual_add_f32 v35, v0, v2
	v_add_f32_e32 v32, v14, v15
	v_dual_sub_f32 v12, v14, v15 :: v_dual_add_f32 v27, v1, v30
	v_dual_sub_f32 v6, v3, v5 :: v_dual_sub_f32 v29, v1, v14
	v_sub_f32_e32 v26, v3, v9
	v_dual_sub_f32 v28, v5, v8 :: v_dual_add_f32 v33, v16, v1
	v_fma_f32 v1, -0.5, v4, v17
	v_fma_f32 v3, -0.5, v18, v17
	v_add_f32_e32 v17, v24, v25
	v_fma_f32 v2, -0.5, v32, v16
	s_delay_alu instid0(VALU_DEP_4)
	v_dual_add_f32 v4, v19, v5 :: v_dual_fmamk_f32 v5, v12, 0x3f737871, v1
	v_fma_f32 v0, -0.5, v27, v16
	v_add_f32_e32 v41, v6, v7
	v_dual_add_f32 v18, v29, v31 :: v_dual_fmac_f32 v1, 0xbf737871, v12
	v_add_f32_e32 v14, v33, v14
	v_dual_fmamk_f32 v7, v13, 0xbf737871, v3 :: v_dual_add_f32 v8, v4, v8
	v_dual_fmac_f32 v3, 0x3f737871, v13 :: v_dual_fmamk_f32 v6, v26, 0x3f737871, v2
	v_fmac_f32_e32 v2, 0xbf737871, v26
	v_fmamk_f32 v4, v28, 0xbf737871, v0
	s_delay_alu instid0(VALU_DEP_4) | instskip(SKIP_1) | instid1(VALU_DEP_3)
	v_dual_fmac_f32 v0, 0x3f737871, v28 :: v_dual_add_f32 v9, v8, v9
	v_dual_add_f32 v14, v14, v15 :: v_dual_fmac_f32 v5, 0xbf167918, v13
	v_dual_fmac_f32 v1, 0x3f167918, v13 :: v_dual_fmac_f32 v4, 0x3f167918, v26
	s_delay_alu instid0(VALU_DEP_2) | instskip(SKIP_3) | instid1(VALU_DEP_3)
	v_dual_fmac_f32 v3, 0x3f167918, v12 :: v_dual_add_f32 v8, v14, v30
	v_fmac_f32_e32 v2, 0xbf167918, v28
	v_dual_fmac_f32 v7, 0xbf167918, v12 :: v_dual_fmac_f32 v0, 0xbf167918, v26
	v_fmac_f32_e32 v6, 0x3f167918, v28
	v_dual_fmac_f32 v1, 0x3e9e377a, v35 :: v_dual_fmac_f32 v2, 0x3e9e377a, v18
	v_fmac_f32_e32 v3, 0x3e9e377a, v41
	v_dual_fmac_f32 v5, 0x3e9e377a, v35 :: v_dual_fmac_f32 v4, 0x3e9e377a, v17
	v_fmac_f32_e32 v0, 0x3e9e377a, v17
	v_dual_fmac_f32 v7, 0x3e9e377a, v41 :: v_dual_fmac_f32 v6, 0x3e9e377a, v18
	ds_store_2addr_b64 v11, v[8:9], v[2:3] offset0:114 offset1:147
	ds_store_2addr_b64 v11, v[0:1], v[4:5] offset0:180 offset1:213
	ds_store_b64 v10, v[6:7] offset:14256
.LBB0_21:
	s_wait_alu 0xfffe
	s_or_b32 exec_lo, exec_lo, s1
	global_wb scope:SCOPE_SE
	s_wait_dscnt 0x0
	s_barrier_signal -1
	s_barrier_wait -1
	global_inv scope:SCOPE_SE
	s_and_saveexec_b32 s0, vcc_lo
	s_cbranch_execz .LBB0_23
; %bb.22:
	v_mul_u32_u24_e32 v0, 10, v34
	v_mad_co_u64_u32 v[34:35], null, s16, v36, 0
	v_mul_lo_u32 v41, s3, v22
	v_mul_lo_u32 v42, s2, v23
	v_mad_co_u64_u32 v[22:23], null, s2, v22, 0
	v_lshlrev_b64_e32 v[20:21], 3, v[20:21]
	v_mad_co_u64_u32 v[53:54], null, s17, v36, v[35:36]
	v_lshlrev_b32_e32 v0, 3, v0
	s_delay_alu instid0(VALU_DEP_4) | instskip(NEXT) | instid1(VALU_DEP_3)
	v_add3_u32 v23, v23, v42, v41
	v_mov_b32_e32 v35, v53
	s_clause 0x4
	global_load_b128 v[4:7], v0, s[8:9] offset:1296
	global_load_b128 v[16:19], v0, s[8:9] offset:1232
	;; [unrolled: 1-line block ×5, first 2 shown]
	ds_load_b64 v[26:27], v40
	ds_load_b64 v[28:29], v39 offset:13200
	ds_load_b64 v[24:25], v39
	v_lshlrev_b64_e32 v[22:23], 3, v[22:23]
	ds_load_b64 v[32:33], v37
	ds_load_b64 v[30:31], v38
	v_add_nc_u32_e32 v56, 0xa5, v36
	v_add_nc_u32_e32 v57, 0x14a, v36
	v_add_nc_u32_e32 v40, 0x2800, v39
	v_add_nc_u32_e32 v43, 0x1e00, v39
	v_add_co_u32 v53, vcc_lo, s6, v22
	v_mad_co_u64_u32 v[49:50], null, s16, v56, 0
	v_mad_co_u64_u32 v[51:52], null, s16, v57, 0
	s_wait_alu 0xfffd
	v_add_co_ci_u32_e32 v59, vcc_lo, s7, v23, vcc_lo
	v_lshlrev_b64_e32 v[22:23], 3, v[34:35]
	v_add_co_u32 v34, vcc_lo, v53, v20
	s_wait_alu 0xfffd
	s_delay_alu instid0(VALU_DEP_3) | instskip(SKIP_1) | instid1(VALU_DEP_3)
	v_add_co_ci_u32_e32 v35, vcc_lo, v59, v21, vcc_lo
	v_mad_co_u64_u32 v[20:21], null, s17, v56, v[50:51]
	v_add_co_u32 v21, vcc_lo, v34, v22
	v_add_nc_u32_e32 v45, 0x1400, v39
	s_wait_alu 0xfffd
	v_add_co_ci_u32_e32 v22, vcc_lo, v35, v23, vcc_lo
	s_wait_loadcnt_dscnt 0x403
	v_mul_f32_e32 v23, v7, v28
	v_mul_f32_e32 v28, v6, v28
	ds_load_2addr_b64 v[37:40], v40 offset0:40 offset1:205
	s_wait_loadcnt_dscnt 0x302
	v_mul_f32_e32 v50, v17, v32
	ds_load_2addr_b64 v[41:44], v43 offset0:30 offset1:195
	ds_load_2addr_b64 v[45:48], v45 offset0:20 offset1:185
	v_add_nc_u32_e32 v58, 0x1ef, v36
	s_wait_dscnt 0x3
	v_mul_f32_e32 v56, v19, v30
	s_wait_loadcnt 0x1
	v_dual_mul_f32 v19, v19, v31 :: v_dual_mul_f32 v60, v13, v26
	v_mul_f32_e32 v17, v17, v33
	v_fma_f32 v23, v6, v29, -v23
	v_fma_f32 v6, v16, v33, -v50
	v_mul_f32_e32 v13, v13, v27
	v_fmac_f32_e32 v28, v29, v7
	s_wait_dscnt 0x2
	v_mul_f32_e32 v53, v5, v39
	s_wait_dscnt 0x0
	v_dual_mul_f32 v39, v4, v39 :: v_dual_mul_f32 v62, v15, v45
	s_wait_loadcnt 0x0
	v_dual_mul_f32 v59, v11, v37 :: v_dual_mul_f32 v64, v1, v47
	v_mul_f32_e32 v37, v10, v37
	v_mul_f32_e32 v63, v3, v41
	v_mad_co_u64_u32 v[54:55], null, s16, v58, 0
	s_delay_alu instid0(VALU_DEP_4) | instskip(SKIP_3) | instid1(VALU_DEP_1)
	v_fma_f32 v10, v10, v38, -v59
	v_fmac_f32_e32 v39, v40, v5
	v_fma_f32 v5, v12, v27, -v60
	v_mul_f32_e32 v61, v9, v43
	v_fma_f32 v7, v8, v44, -v61
	v_mul_f32_e32 v43, v8, v43
	v_fma_f32 v8, v14, v46, -v62
	s_delay_alu instid0(VALU_DEP_2) | instskip(SKIP_4) | instid1(VALU_DEP_1)
	v_fmac_f32_e32 v43, v44, v9
	v_fma_f32 v9, v0, v48, -v64
	v_fmac_f32_e32 v37, v38, v11
	v_fmac_f32_e32 v19, v18, v30
	v_dual_mul_f32 v1, v1, v48 :: v_dual_sub_f32 v44, v8, v7
	v_fmac_f32_e32 v1, v0, v47
	v_fmac_f32_e32 v17, v16, v32
	v_fma_f32 v16, v4, v40, -v53
	v_fma_f32 v4, v18, v31, -v56
	v_dual_mul_f32 v41, v2, v41 :: v_dual_add_f32 v0, v23, v6
	v_dual_fmac_f32 v13, v12, v26 :: v_dual_sub_f32 v32, v6, v23
	v_dual_add_f32 v6, v6, v25 :: v_dual_mul_f32 v15, v15, v46
	v_fma_f32 v2, v2, v42, -v63
	v_add_f32_e32 v26, v7, v8
	v_dual_sub_f32 v38, v4, v16 :: v_dual_fmac_f32 v41, v42, v3
	v_mul_f32_e32 v60, 0xbe903f40, v32
	s_delay_alu instid0(VALU_DEP_4)
	v_sub_f32_e32 v46, v9, v2
	v_sub_f32_e32 v18, v13, v37
	v_fmac_f32_e32 v15, v14, v45
	v_dual_add_f32 v14, v10, v5 :: v_dual_add_f32 v11, v16, v4
	v_dual_add_f32 v29, v2, v9 :: v_dual_mul_f32 v68, 0x3f7d64f0, v38
	v_sub_f32_e32 v40, v5, v10
	v_mul_f32_e32 v56, 0x3ed4b147, v26
	v_sub_f32_e32 v30, v1, v41
	v_dual_mul_f32 v64, 0x3f575c64, v14 :: v_dual_sub_f32 v3, v17, v28
	v_dual_mul_f32 v50, 0x3f575c64, v11 :: v_dual_add_f32 v31, v28, v17
	v_dual_mul_f32 v70, 0xbf75a155, v11 :: v_dual_add_f32 v17, v17, v24
	v_mul_f32_e32 v72, 0x3f575c64, v26
	v_dual_add_f32 v42, v37, v13 :: v_dual_add_f32 v33, v39, v19
	v_mul_f32_e32 v66, 0x3ed4b147, v29
	v_dual_mul_f32 v53, 0xbf27a4f4, v14 :: v_dual_add_f32 v4, v6, v4
	v_dual_mul_f32 v61, 0x3f0a6770, v38 :: v_dual_add_f32 v6, v17, v19
	v_dual_mul_f32 v17, 0x3e903f40, v38 :: v_dual_mul_f32 v84, 0x3e903f40, v40
	v_dual_sub_f32 v12, v19, v39 :: v_dual_add_f32 v47, v41, v1
	v_mul_f32_e32 v76, 0xbf27a4f4, v11
	v_dual_mul_f32 v48, 0xbf75a155, v0 :: v_dual_sub_f32 v27, v15, v43
	v_dual_mul_f32 v62, 0xbf27a4f4, v0 :: v_dual_add_f32 v45, v43, v15
	v_mul_f32_e32 v74, 0xbf7d64f0, v32
	v_mul_f32_e32 v63, 0xbe11bafb, v11
	v_mul_f32_e32 v67, 0xbf4178ce, v32
	v_mul_f32_e32 v69, 0xbe11bafb, v0
	v_dual_mul_f32 v75, 0x3ed4b147, v0 :: v_dual_add_f32 v4, v4, v5
	v_dual_mul_f32 v77, 0xbf75a155, v14 :: v_dual_fmamk_f32 v122, v42, 0xbf75a155, v84
	v_dual_mul_f32 v79, 0x3f575c64, v29 :: v_dual_mul_f32 v0, 0x3f575c64, v0
	v_dual_mul_f32 v80, 0xbf68dda4, v32 :: v_dual_fmamk_f32 v103, v30, 0xbf68dda4, v66
	v_mul_f32_e32 v71, 0x3ed4b147, v14
	v_mul_f32_e32 v14, 0xbe11bafb, v14
	v_dual_mul_f32 v32, 0xbf0a6770, v32 :: v_dual_add_f32 v5, v6, v13
	v_dual_mul_f32 v83, 0x3f68dda4, v40 :: v_dual_mul_f32 v90, 0x3f68dda4, v46
	v_mul_f32_e32 v11, 0x3ed4b147, v11
	v_dual_mul_f32 v86, 0xbe903f40, v44 :: v_dual_fmamk_f32 v113, v18, 0xbe903f40, v77
	v_dual_mul_f32 v59, 0xbe11bafb, v29 :: v_dual_mul_f32 v78, 0xbe11bafb, v26
	v_dual_mul_f32 v65, 0xbf75a155, v26 :: v_dual_fmamk_f32 v98, v31, 0xbf75a155, v60
	v_dual_mul_f32 v73, 0xbf27a4f4, v29 :: v_dual_mul_f32 v26, 0xbf27a4f4, v26
	s_delay_alu instid0(VALU_DEP_4)
	v_dual_mul_f32 v29, 0xbf75a155, v29 :: v_dual_fmamk_f32 v124, v45, 0xbf75a155, v86
	v_mul_f32_e32 v19, 0xbf4178ce, v38
	v_mul_f32_e32 v81, 0xbf4178ce, v40
	;; [unrolled: 1-line block ×3, first 2 shown]
	v_dual_mul_f32 v87, 0xbf0a6770, v44 :: v_dual_fmamk_f32 v94, v12, 0xbf0a6770, v50
	v_dual_mul_f32 v88, 0x3f7d64f0, v44 :: v_dual_fmamk_f32 v97, v30, 0x3f7d64f0, v59
	v_mul_f32_e32 v44, 0xbf4178ce, v44
	v_mul_f32_e32 v89, 0xbf7d64f0, v46
	;; [unrolled: 1-line block ×3, first 2 shown]
	v_dual_mul_f32 v92, 0x3f0a6770, v46 :: v_dual_fmamk_f32 v101, v18, 0x3f0a6770, v64
	v_mul_f32_e32 v46, 0xbe903f40, v46
	v_dual_fmamk_f32 v95, v18, 0x3f4178ce, v53 :: v_dual_fmamk_f32 v112, v12, 0x3f4178ce, v76
	v_fmamk_f32 v96, v27, 0xbf68dda4, v56
	v_fmamk_f32 v100, v12, 0xbf7d64f0, v63
	;; [unrolled: 1-line block ×5, first 2 shown]
	v_dual_fmamk_f32 v111, v3, 0x3f68dda4, v75 :: v_dual_fmac_f32 v66, 0x3f68dda4, v30
	v_fmamk_f32 v114, v31, 0x3ed4b147, v80
	v_dual_mul_f32 v38, 0xbf68dda4, v38 :: v_dual_fmamk_f32 v107, v18, 0xbf68dda4, v71
	v_fmac_f32_e32 v69, 0xbf7d64f0, v3
	v_fmac_f32_e32 v75, 0xbf68dda4, v3
	v_fma_f32 v60, 0xbf75a155, v31, -v60
	v_fmamk_f32 v115, v3, 0x3f0a6770, v0
	v_fmac_f32_e32 v0, 0xbf0a6770, v3
	v_fmamk_f32 v117, v12, 0x3f68dda4, v11
	v_fmac_f32_e32 v50, 0x3f0a6770, v12
	v_fmac_f32_e32 v63, 0x3f7d64f0, v12
	v_dual_fmac_f32 v70, 0x3e903f40, v12 :: v_dual_fmac_f32 v77, 0x3e903f40, v18
	v_fmac_f32_e32 v76, 0xbf4178ce, v12
	v_fmac_f32_e32 v11, 0xbf68dda4, v12
	v_fmamk_f32 v12, v18, 0x3f7d64f0, v14
	v_fmamk_f32 v93, v3, 0x3e903f40, v48
	v_mul_f32_e32 v82, 0xbf0a6770, v40
	v_mul_f32_e32 v40, 0xbf7d64f0, v40
	v_fmac_f32_e32 v48, 0xbe903f40, v3
	v_fmamk_f32 v99, v3, 0x3f4178ce, v62
	v_fmac_f32_e32 v62, 0xbf4178ce, v3
	v_dual_fmamk_f32 v104, v31, 0xbf27a4f4, v67 :: v_dual_fmamk_f32 v127, v45, 0xbf27a4f4, v44
	v_fmamk_f32 v3, v31, 0x3f575c64, v32
	v_fmamk_f32 v102, v27, 0x3e903f40, v65
	;; [unrolled: 1-line block ×4, first 2 shown]
	v_fma_f32 v67, 0xbf27a4f4, v31, -v67
	v_fma_f32 v74, 0xbe11bafb, v31, -v74
	;; [unrolled: 1-line block ×4, first 2 shown]
	v_fmamk_f32 v32, v27, 0xbf7d64f0, v78
	v_fmamk_f32 v116, v30, 0xbf0a6770, v79
	v_dual_fmac_f32 v64, 0xbf0a6770, v18 :: v_dual_add_f32 v67, v67, v24
	v_dual_fmac_f32 v71, 0x3f68dda4, v18 :: v_dual_add_f32 v62, v62, v25
	;; [unrolled: 1-line block ×3, first 2 shown]
	v_fmac_f32_e32 v56, 0x3f68dda4, v27
	v_fmac_f32_e32 v65, 0xbe903f40, v27
	;; [unrolled: 1-line block ×4, first 2 shown]
	v_dual_fmac_f32 v59, 0xbf7d64f0, v30 :: v_dual_add_f32 v74, v74, v24
	v_fmac_f32_e32 v73, 0xbf4178ce, v30
	v_fmac_f32_e32 v79, 0x3f0a6770, v30
	v_fmamk_f32 v118, v33, 0xbe11bafb, v68
	v_fma_f32 v68, 0xbe11bafb, v33, -v68
	v_fmamk_f32 v119, v33, 0xbf75a155, v17
	v_fma_f32 v17, 0xbf75a155, v33, -v17
	;; [unrolled: 2-line block ×3, first 2 shown]
	v_dual_fmamk_f32 v121, v33, 0x3ed4b147, v38 :: v_dual_add_f32 v4, v4, v8
	v_fma_f32 v84, 0xbf75a155, v42, -v84
	v_fmamk_f32 v123, v42, 0xbe11bafb, v40
	v_fma_f32 v40, 0xbe11bafb, v42, -v40
	v_fma_f32 v86, 0xbf75a155, v45, -v86
	v_fmamk_f32 v125, v45, 0x3f575c64, v87
	v_fma_f32 v87, 0x3f575c64, v45, -v87
	v_fmamk_f32 v126, v45, 0xbe11bafb, v88
	v_fma_f32 v88, 0xbe11bafb, v45, -v88
	v_fma_f32 v44, 0xbf27a4f4, v45, -v44
	v_fmamk_f32 v128, v47, 0x3ed4b147, v90
	v_fma_f32 v90, 0x3ed4b147, v47, -v90
	v_fmamk_f32 v129, v47, 0xbf27a4f4, v91
	v_fma_f32 v91, 0xbf27a4f4, v47, -v91
	v_dual_fmamk_f32 v131, v47, 0xbf75a155, v46 :: v_dual_add_f32 v4, v4, v9
	v_fma_f32 v46, 0xbf75a155, v47, -v46
	v_add_f32_e32 v48, v48, v25
	v_dual_add_f32 v60, v60, v24 :: v_dual_fmac_f32 v53, 0xbf4178ce, v18
	v_fmamk_f32 v18, v27, 0x3f4178ce, v26
	v_fmac_f32_e32 v26, 0xbf4178ce, v27
	v_dual_fmamk_f32 v27, v30, 0x3e903f40, v29 :: v_dual_add_f32 v80, v80, v24
	v_fmac_f32_e32 v29, 0xbe903f40, v30
	v_fmamk_f32 v30, v33, 0x3f575c64, v61
	v_fma_f32 v61, 0x3f575c64, v33, -v61
	v_fma_f32 v33, 0x3ed4b147, v33, -v38
	v_dual_fmamk_f32 v6, v42, 0xbf27a4f4, v81 :: v_dual_add_f32 v5, v5, v15
	v_fma_f32 v13, 0xbf27a4f4, v42, -v81
	v_fmamk_f32 v38, v42, 0x3f575c64, v82
	v_fma_f32 v81, 0x3f575c64, v42, -v82
	v_fmamk_f32 v82, v42, 0x3ed4b147, v83
	;; [unrolled: 2-line block ×4, first 2 shown]
	v_fma_f32 v89, 0xbe11bafb, v47, -v89
	v_dual_fmamk_f32 v130, v47, 0x3f575c64, v92 :: v_dual_add_f32 v1, v5, v1
	v_fma_f32 v92, 0x3f575c64, v47, -v92
	v_add_f32_e32 v47, v93, v25
	v_dual_add_f32 v93, v98, v24 :: v_dual_add_f32 v98, v99, v25
	v_dual_add_f32 v99, v104, v24 :: v_dual_add_f32 v104, v105, v25
	;; [unrolled: 1-line block ×4, first 2 shown]
	v_add_f32_e32 v3, v3, v24
	v_add_f32_e32 v69, v69, v25
	;; [unrolled: 1-line block ×6, first 2 shown]
	v_dual_add_f32 v25, v98, v100 :: v_dual_add_f32 v30, v99, v118
	v_add_f32_e32 v9, v60, v61
	v_add_f32_e32 v31, v104, v106
	;; [unrolled: 1-line block ×4, first 2 shown]
	v_dual_add_f32 v94, v111, v120 :: v_dual_add_f32 v5, v48, v50
	v_add_f32_e32 v98, v114, v117
	v_dual_add_f32 v3, v3, v121 :: v_dual_add_f32 v48, v62, v63
	v_dual_add_f32 v50, v67, v68 :: v_dual_add_f32 v17, v74, v17
	;; [unrolled: 1-line block ×6, first 2 shown]
	v_add_f32_e32 v8, v8, v95
	v_dual_add_f32 v25, v31, v107 :: v_dual_add_f32 v12, v98, v12
	v_dual_add_f32 v30, v47, v82 :: v_dual_add_f32 v1, v41, v1
	v_add_f32_e32 v31, v93, v113
	v_add_f32_e32 v33, v94, v122
	v_dual_add_f32 v3, v3, v123 :: v_dual_add_f32 v2, v2, v4
	v_add_f32_e32 v4, v5, v53
	v_dual_add_f32 v5, v9, v13 :: v_dual_add_f32 v38, v60, v71
	v_dual_add_f32 v9, v48, v64 :: v_dual_add_f32 v6, v6, v42
	;; [unrolled: 1-line block ×9, first 2 shown]
	v_add_f32_e32 v32, v7, v2
	v_add_f32_e32 v33, v43, v1
	v_dual_add_f32 v11, v11, v40 :: v_dual_add_f32 v42, v5, v85
	v_dual_add_f32 v40, v4, v56 :: v_dual_add_f32 v43, v9, v65
	;; [unrolled: 1-line block ×4, first 2 shown]
	v_add_f32_e32 v5, v24, v109
	v_dual_add_f32 v7, v30, v116 :: v_dual_add_f32 v24, v37, v33
	v_add_f32_e32 v9, v12, v27
	v_add_f32_e32 v8, v18, v131
	v_dual_add_f32 v18, v10, v32 :: v_dual_add_f32 v41, v41, v78
	v_dual_add_f32 v44, v11, v44 :: v_dual_add_f32 v3, v14, v103
	v_add_f32_e32 v4, v25, v129
	v_dual_add_f32 v14, v17, v91 :: v_dual_add_f32 v25, v39, v24
	s_delay_alu instid0(VALU_DEP_4) | instskip(SKIP_3) | instid1(VALU_DEP_4)
	v_dual_add_f32 v18, v16, v18 :: v_dual_add_f32 v17, v41, v79
	v_mov_b32_e32 v50, v20
	v_mov_b32_e32 v20, v55
	v_dual_add_f32 v19, v19, v88 :: v_dual_add_f32 v0, v6, v45
	v_dual_add_f32 v24, v23, v18 :: v_dual_add_f32 v23, v28, v25
	v_add_nc_u32_e32 v30, 0x339, v36
	s_delay_alu instid0(VALU_DEP_3)
	v_dual_add_f32 v16, v19, v92 :: v_dual_add_f32 v19, v26, v29
	v_mad_co_u64_u32 v[25:26], null, s17, v57, v[52:53]
	global_store_b64 v[21:22], v[23:24], off
	v_lshlrev_b64_e32 v[21:22], 3, v[49:50]
	v_dual_add_f32 v47, v13, v86 :: v_dual_add_f32 v38, v38, v72
	v_add_f32_e32 v13, v43, v66
	v_add_f32_e32 v6, v31, v130
	v_mov_b32_e32 v52, v25
	v_mad_co_u64_u32 v[23:24], null, s17, v58, v[20:21]
	v_add_nc_u32_e32 v28, 0x294, v36
	v_add_co_u32 v21, vcc_lo, v34, v21
	s_wait_alu 0xfffd
	v_add_co_ci_u32_e32 v22, vcc_lo, v35, v22, vcc_lo
	v_lshlrev_b64_e32 v[24:25], 3, v[51:52]
	v_mov_b32_e32 v55, v23
	v_mad_co_u64_u32 v[26:27], null, s16, v28, 0
	global_store_b64 v[21:22], v[8:9], off
	v_add_nc_u32_e32 v22, 0x3de, v36
	v_add_co_u32 v23, vcc_lo, v34, v24
	s_wait_alu 0xfffd
	v_add_co_ci_u32_e32 v24, vcc_lo, v35, v25, vcc_lo
	v_mov_b32_e32 v20, v27
	v_dual_add_f32 v18, v44, v46 :: v_dual_add_nc_u32 v25, 0x528, v36
	global_store_b64 v[23:24], v[6:7], off
	v_add_nc_u32_e32 v23, 0x483, v36
	v_mad_co_u64_u32 v[27:28], null, s17, v28, v[20:21]
	v_mad_co_u64_u32 v[28:29], null, s16, v30, 0
	v_lshlrev_b64_e32 v[20:21], 3, v[54:55]
	v_dual_add_f32 v11, v40, v59 :: v_dual_add_f32 v10, v42, v89
	v_dual_add_f32 v12, v47, v90 :: v_dual_add_f32 v15, v38, v73
	v_lshlrev_b64_e32 v[6:7], 3, v[26:27]
	v_mov_b32_e32 v8, v29
	v_add_co_u32 v20, vcc_lo, v34, v20
	s_wait_alu 0xfffd
	v_add_co_ci_u32_e32 v21, vcc_lo, v35, v21, vcc_lo
	s_delay_alu instid0(VALU_DEP_3)
	v_mad_co_u64_u32 v[8:9], null, s17, v30, v[8:9]
	v_add_co_u32 v6, vcc_lo, v34, v6
	s_wait_alu 0xfffd
	v_add_co_ci_u32_e32 v7, vcc_lo, v35, v7, vcc_lo
	global_store_b64 v[20:21], v[4:5], off
	v_mad_co_u64_u32 v[4:5], null, s16, v23, 0
	v_mov_b32_e32 v29, v8
	v_mad_co_u64_u32 v[8:9], null, s16, v22, 0
	global_store_b64 v[6:7], v[2:3], off
	v_mad_co_u64_u32 v[20:21], null, s16, v25, 0
	v_lshlrev_b64_e32 v[2:3], 3, v[28:29]
	v_add_nc_u32_e32 v27, 0x5cd, v36
	v_add_nc_u32_e32 v28, 0x672, v36
	v_mov_b32_e32 v6, v9
	s_delay_alu instid0(VALU_DEP_4) | instskip(NEXT) | instid1(VALU_DEP_2)
	v_add_co_u32 v2, vcc_lo, v34, v2
	v_mad_co_u64_u32 v[6:7], null, s17, v22, v[6:7]
	s_wait_alu 0xfffd
	v_add_co_ci_u32_e32 v3, vcc_lo, v35, v3, vcc_lo
	global_store_b64 v[2:3], v[0:1], off
	v_mad_co_u64_u32 v[22:23], null, s17, v23, v[5:6]
	v_mov_b32_e32 v5, v21
	v_mad_co_u64_u32 v[23:24], null, s16, v27, 0
	v_mov_b32_e32 v9, v6
	s_delay_alu instid0(VALU_DEP_3) | instskip(SKIP_1) | instid1(VALU_DEP_3)
	v_mad_co_u64_u32 v[25:26], null, s17, v25, v[5:6]
	v_mad_co_u64_u32 v[6:7], null, s16, v28, 0
	v_lshlrev_b64_e32 v[1:2], 3, v[8:9]
	v_dual_mov_b32 v0, v24 :: v_dual_mov_b32 v5, v22
	s_delay_alu instid0(VALU_DEP_4) | instskip(NEXT) | instid1(VALU_DEP_2)
	v_mov_b32_e32 v21, v25
	v_mad_co_u64_u32 v[8:9], null, s17, v27, v[0:1]
	v_mov_b32_e32 v0, v7
	v_add_co_u32 v1, vcc_lo, v34, v1
	v_lshlrev_b64_e32 v[3:4], 3, v[4:5]
	v_lshlrev_b64_e32 v[20:21], 3, v[20:21]
	s_wait_alu 0xfffd
	v_add_co_ci_u32_e32 v2, vcc_lo, v35, v2, vcc_lo
	v_mad_co_u64_u32 v[25:26], null, s17, v28, v[0:1]
	v_mov_b32_e32 v24, v8
	v_add_co_u32 v3, vcc_lo, v34, v3
	s_wait_alu 0xfffd
	v_add_co_ci_u32_e32 v4, vcc_lo, v35, v4, vcc_lo
	s_delay_alu instid0(VALU_DEP_3) | instskip(SKIP_4) | instid1(VALU_DEP_3)
	v_lshlrev_b64_e32 v[8:9], 3, v[23:24]
	v_mov_b32_e32 v7, v25
	v_add_co_u32 v20, vcc_lo, v34, v20
	s_wait_alu 0xfffd
	v_add_co_ci_u32_e32 v21, vcc_lo, v35, v21, vcc_lo
	v_lshlrev_b64_e32 v[5:6], 3, v[6:7]
	v_add_co_u32 v7, vcc_lo, v34, v8
	s_wait_alu 0xfffd
	v_add_co_ci_u32_e32 v8, vcc_lo, v35, v9, vcc_lo
	s_delay_alu instid0(VALU_DEP_3)
	v_add_co_u32 v5, vcc_lo, v34, v5
	s_wait_alu 0xfffd
	v_add_co_ci_u32_e32 v6, vcc_lo, v35, v6, vcc_lo
	s_clause 0x4
	global_store_b64 v[1:2], v[10:11], off
	global_store_b64 v[3:4], v[12:13], off
	;; [unrolled: 1-line block ×5, first 2 shown]
.LBB0_23:
	s_nop 0
	s_sendmsg sendmsg(MSG_DEALLOC_VGPRS)
	s_endpgm
	.section	.rodata,"a",@progbits
	.p2align	6, 0x0
	.amdhsa_kernel fft_rtc_back_len1815_factors_11_3_5_11_wgs_165_tpt_165_sp_op_CI_CI_sbrr_dirReg
		.amdhsa_group_segment_fixed_size 0
		.amdhsa_private_segment_fixed_size 0
		.amdhsa_kernarg_size 104
		.amdhsa_user_sgpr_count 2
		.amdhsa_user_sgpr_dispatch_ptr 0
		.amdhsa_user_sgpr_queue_ptr 0
		.amdhsa_user_sgpr_kernarg_segment_ptr 1
		.amdhsa_user_sgpr_dispatch_id 0
		.amdhsa_user_sgpr_private_segment_size 0
		.amdhsa_wavefront_size32 1
		.amdhsa_uses_dynamic_stack 0
		.amdhsa_enable_private_segment 0
		.amdhsa_system_sgpr_workgroup_id_x 1
		.amdhsa_system_sgpr_workgroup_id_y 0
		.amdhsa_system_sgpr_workgroup_id_z 0
		.amdhsa_system_sgpr_workgroup_info 0
		.amdhsa_system_vgpr_workitem_id 0
		.amdhsa_next_free_vgpr 132
		.amdhsa_next_free_sgpr 43
		.amdhsa_reserve_vcc 1
		.amdhsa_float_round_mode_32 0
		.amdhsa_float_round_mode_16_64 0
		.amdhsa_float_denorm_mode_32 3
		.amdhsa_float_denorm_mode_16_64 3
		.amdhsa_fp16_overflow 0
		.amdhsa_workgroup_processor_mode 1
		.amdhsa_memory_ordered 1
		.amdhsa_forward_progress 0
		.amdhsa_round_robin_scheduling 0
		.amdhsa_exception_fp_ieee_invalid_op 0
		.amdhsa_exception_fp_denorm_src 0
		.amdhsa_exception_fp_ieee_div_zero 0
		.amdhsa_exception_fp_ieee_overflow 0
		.amdhsa_exception_fp_ieee_underflow 0
		.amdhsa_exception_fp_ieee_inexact 0
		.amdhsa_exception_int_div_zero 0
	.end_amdhsa_kernel
	.text
.Lfunc_end0:
	.size	fft_rtc_back_len1815_factors_11_3_5_11_wgs_165_tpt_165_sp_op_CI_CI_sbrr_dirReg, .Lfunc_end0-fft_rtc_back_len1815_factors_11_3_5_11_wgs_165_tpt_165_sp_op_CI_CI_sbrr_dirReg
                                        ; -- End function
	.section	.AMDGPU.csdata,"",@progbits
; Kernel info:
; codeLenInByte = 10668
; NumSgprs: 45
; NumVgprs: 132
; ScratchSize: 0
; MemoryBound: 0
; FloatMode: 240
; IeeeMode: 1
; LDSByteSize: 0 bytes/workgroup (compile time only)
; SGPRBlocks: 5
; VGPRBlocks: 16
; NumSGPRsForWavesPerEU: 45
; NumVGPRsForWavesPerEU: 132
; Occupancy: 10
; WaveLimiterHint : 1
; COMPUTE_PGM_RSRC2:SCRATCH_EN: 0
; COMPUTE_PGM_RSRC2:USER_SGPR: 2
; COMPUTE_PGM_RSRC2:TRAP_HANDLER: 0
; COMPUTE_PGM_RSRC2:TGID_X_EN: 1
; COMPUTE_PGM_RSRC2:TGID_Y_EN: 0
; COMPUTE_PGM_RSRC2:TGID_Z_EN: 0
; COMPUTE_PGM_RSRC2:TIDIG_COMP_CNT: 0
	.text
	.p2alignl 7, 3214868480
	.fill 96, 4, 3214868480
	.type	__hip_cuid_293e2e3105198a9a,@object ; @__hip_cuid_293e2e3105198a9a
	.section	.bss,"aw",@nobits
	.globl	__hip_cuid_293e2e3105198a9a
__hip_cuid_293e2e3105198a9a:
	.byte	0                               ; 0x0
	.size	__hip_cuid_293e2e3105198a9a, 1

	.ident	"AMD clang version 19.0.0git (https://github.com/RadeonOpenCompute/llvm-project roc-6.4.0 25133 c7fe45cf4b819c5991fe208aaa96edf142730f1d)"
	.section	".note.GNU-stack","",@progbits
	.addrsig
	.addrsig_sym __hip_cuid_293e2e3105198a9a
	.amdgpu_metadata
---
amdhsa.kernels:
  - .args:
      - .actual_access:  read_only
        .address_space:  global
        .offset:         0
        .size:           8
        .value_kind:     global_buffer
      - .offset:         8
        .size:           8
        .value_kind:     by_value
      - .actual_access:  read_only
        .address_space:  global
        .offset:         16
        .size:           8
        .value_kind:     global_buffer
      - .actual_access:  read_only
        .address_space:  global
        .offset:         24
        .size:           8
        .value_kind:     global_buffer
      - .actual_access:  read_only
        .address_space:  global
        .offset:         32
        .size:           8
        .value_kind:     global_buffer
      - .offset:         40
        .size:           8
        .value_kind:     by_value
      - .actual_access:  read_only
        .address_space:  global
        .offset:         48
        .size:           8
        .value_kind:     global_buffer
      - .actual_access:  read_only
        .address_space:  global
        .offset:         56
        .size:           8
        .value_kind:     global_buffer
      - .offset:         64
        .size:           4
        .value_kind:     by_value
      - .actual_access:  read_only
        .address_space:  global
        .offset:         72
        .size:           8
        .value_kind:     global_buffer
      - .actual_access:  read_only
        .address_space:  global
        .offset:         80
        .size:           8
        .value_kind:     global_buffer
      - .actual_access:  read_only
        .address_space:  global
        .offset:         88
        .size:           8
        .value_kind:     global_buffer
      - .actual_access:  write_only
        .address_space:  global
        .offset:         96
        .size:           8
        .value_kind:     global_buffer
    .group_segment_fixed_size: 0
    .kernarg_segment_align: 8
    .kernarg_segment_size: 104
    .language:       OpenCL C
    .language_version:
      - 2
      - 0
    .max_flat_workgroup_size: 165
    .name:           fft_rtc_back_len1815_factors_11_3_5_11_wgs_165_tpt_165_sp_op_CI_CI_sbrr_dirReg
    .private_segment_fixed_size: 0
    .sgpr_count:     45
    .sgpr_spill_count: 0
    .symbol:         fft_rtc_back_len1815_factors_11_3_5_11_wgs_165_tpt_165_sp_op_CI_CI_sbrr_dirReg.kd
    .uniform_work_group_size: 1
    .uses_dynamic_stack: false
    .vgpr_count:     132
    .vgpr_spill_count: 0
    .wavefront_size: 32
    .workgroup_processor_mode: 1
amdhsa.target:   amdgcn-amd-amdhsa--gfx1201
amdhsa.version:
  - 1
  - 2
...

	.end_amdgpu_metadata
